;; amdgpu-corpus repo=ROCm/rocFFT kind=compiled arch=gfx906 opt=O3
	.text
	.amdgcn_target "amdgcn-amd-amdhsa--gfx906"
	.amdhsa_code_object_version 6
	.protected	fft_rtc_back_len1008_factors_2_2_2_2_3_3_7_wgs_56_tpt_56_halfLds_dp_ip_CI_unitstride_sbrr_C2R_dirReg ; -- Begin function fft_rtc_back_len1008_factors_2_2_2_2_3_3_7_wgs_56_tpt_56_halfLds_dp_ip_CI_unitstride_sbrr_C2R_dirReg
	.globl	fft_rtc_back_len1008_factors_2_2_2_2_3_3_7_wgs_56_tpt_56_halfLds_dp_ip_CI_unitstride_sbrr_C2R_dirReg
	.p2align	8
	.type	fft_rtc_back_len1008_factors_2_2_2_2_3_3_7_wgs_56_tpt_56_halfLds_dp_ip_CI_unitstride_sbrr_C2R_dirReg,@function
fft_rtc_back_len1008_factors_2_2_2_2_3_3_7_wgs_56_tpt_56_halfLds_dp_ip_CI_unitstride_sbrr_C2R_dirReg: ; @fft_rtc_back_len1008_factors_2_2_2_2_3_3_7_wgs_56_tpt_56_halfLds_dp_ip_CI_unitstride_sbrr_C2R_dirReg
; %bb.0:
	s_load_dwordx2 s[12:13], s[4:5], 0x50
	s_load_dwordx4 s[8:11], s[4:5], 0x0
	s_load_dwordx2 s[2:3], s[4:5], 0x18
	v_mul_u32_u24_e32 v1, 0x493, v0
	v_add_u32_sdwa v5, s6, v1 dst_sel:DWORD dst_unused:UNUSED_PAD src0_sel:DWORD src1_sel:WORD_1
	v_mov_b32_e32 v3, 0
	s_waitcnt lgkmcnt(0)
	v_cmp_lt_u64_e64 s[0:1], s[10:11], 2
	v_mov_b32_e32 v1, 0
	v_mov_b32_e32 v6, v3
	s_and_b64 vcc, exec, s[0:1]
	v_mov_b32_e32 v2, 0
	s_cbranch_vccnz .LBB0_8
; %bb.1:
	s_load_dwordx2 s[0:1], s[4:5], 0x10
	s_add_u32 s6, s2, 8
	s_addc_u32 s7, s3, 0
	v_mov_b32_e32 v1, 0
	v_mov_b32_e32 v2, 0
	s_waitcnt lgkmcnt(0)
	s_add_u32 s14, s0, 8
	s_addc_u32 s15, s1, 0
	s_mov_b64 s[16:17], 1
.LBB0_2:                                ; =>This Inner Loop Header: Depth=1
	s_load_dwordx2 s[18:19], s[14:15], 0x0
                                        ; implicit-def: $vgpr7_vgpr8
	s_waitcnt lgkmcnt(0)
	v_or_b32_e32 v4, s19, v6
	v_cmp_ne_u64_e32 vcc, 0, v[3:4]
	s_and_saveexec_b64 s[0:1], vcc
	s_xor_b64 s[20:21], exec, s[0:1]
	s_cbranch_execz .LBB0_4
; %bb.3:                                ;   in Loop: Header=BB0_2 Depth=1
	v_cvt_f32_u32_e32 v4, s18
	v_cvt_f32_u32_e32 v7, s19
	s_sub_u32 s0, 0, s18
	s_subb_u32 s1, 0, s19
	v_mac_f32_e32 v4, 0x4f800000, v7
	v_rcp_f32_e32 v4, v4
	v_mul_f32_e32 v4, 0x5f7ffffc, v4
	v_mul_f32_e32 v7, 0x2f800000, v4
	v_trunc_f32_e32 v7, v7
	v_mac_f32_e32 v4, 0xcf800000, v7
	v_cvt_u32_f32_e32 v7, v7
	v_cvt_u32_f32_e32 v4, v4
	v_mul_lo_u32 v8, s0, v7
	v_mul_hi_u32 v9, s0, v4
	v_mul_lo_u32 v11, s1, v4
	v_mul_lo_u32 v10, s0, v4
	v_add_u32_e32 v8, v9, v8
	v_add_u32_e32 v8, v8, v11
	v_mul_hi_u32 v9, v4, v10
	v_mul_lo_u32 v11, v4, v8
	v_mul_hi_u32 v13, v4, v8
	v_mul_hi_u32 v12, v7, v10
	v_mul_lo_u32 v10, v7, v10
	v_mul_hi_u32 v14, v7, v8
	v_add_co_u32_e32 v9, vcc, v9, v11
	v_addc_co_u32_e32 v11, vcc, 0, v13, vcc
	v_mul_lo_u32 v8, v7, v8
	v_add_co_u32_e32 v9, vcc, v9, v10
	v_addc_co_u32_e32 v9, vcc, v11, v12, vcc
	v_addc_co_u32_e32 v10, vcc, 0, v14, vcc
	v_add_co_u32_e32 v8, vcc, v9, v8
	v_addc_co_u32_e32 v9, vcc, 0, v10, vcc
	v_add_co_u32_e32 v4, vcc, v4, v8
	v_addc_co_u32_e32 v7, vcc, v7, v9, vcc
	v_mul_lo_u32 v8, s0, v7
	v_mul_hi_u32 v9, s0, v4
	v_mul_lo_u32 v10, s1, v4
	v_mul_lo_u32 v11, s0, v4
	v_add_u32_e32 v8, v9, v8
	v_add_u32_e32 v8, v8, v10
	v_mul_lo_u32 v12, v4, v8
	v_mul_hi_u32 v13, v4, v11
	v_mul_hi_u32 v14, v4, v8
	;; [unrolled: 1-line block ×3, first 2 shown]
	v_mul_lo_u32 v11, v7, v11
	v_mul_hi_u32 v9, v7, v8
	v_add_co_u32_e32 v12, vcc, v13, v12
	v_addc_co_u32_e32 v13, vcc, 0, v14, vcc
	v_mul_lo_u32 v8, v7, v8
	v_add_co_u32_e32 v11, vcc, v12, v11
	v_addc_co_u32_e32 v10, vcc, v13, v10, vcc
	v_addc_co_u32_e32 v9, vcc, 0, v9, vcc
	v_add_co_u32_e32 v8, vcc, v10, v8
	v_addc_co_u32_e32 v9, vcc, 0, v9, vcc
	v_add_co_u32_e32 v4, vcc, v4, v8
	v_addc_co_u32_e32 v9, vcc, v7, v9, vcc
	v_mad_u64_u32 v[7:8], s[0:1], v5, v9, 0
	v_mul_hi_u32 v10, v5, v4
	v_add_co_u32_e32 v11, vcc, v10, v7
	v_addc_co_u32_e32 v12, vcc, 0, v8, vcc
	v_mad_u64_u32 v[7:8], s[0:1], v6, v4, 0
	v_mad_u64_u32 v[9:10], s[0:1], v6, v9, 0
	v_add_co_u32_e32 v4, vcc, v11, v7
	v_addc_co_u32_e32 v4, vcc, v12, v8, vcc
	v_addc_co_u32_e32 v7, vcc, 0, v10, vcc
	v_add_co_u32_e32 v4, vcc, v4, v9
	v_addc_co_u32_e32 v9, vcc, 0, v7, vcc
	v_mul_lo_u32 v10, s19, v4
	v_mul_lo_u32 v11, s18, v9
	v_mad_u64_u32 v[7:8], s[0:1], s18, v4, 0
	v_add3_u32 v8, v8, v11, v10
	v_sub_u32_e32 v10, v6, v8
	v_mov_b32_e32 v11, s19
	v_sub_co_u32_e32 v7, vcc, v5, v7
	v_subb_co_u32_e64 v10, s[0:1], v10, v11, vcc
	v_subrev_co_u32_e64 v11, s[0:1], s18, v7
	v_subbrev_co_u32_e64 v10, s[0:1], 0, v10, s[0:1]
	v_cmp_le_u32_e64 s[0:1], s19, v10
	v_cndmask_b32_e64 v12, 0, -1, s[0:1]
	v_cmp_le_u32_e64 s[0:1], s18, v11
	v_cndmask_b32_e64 v11, 0, -1, s[0:1]
	v_cmp_eq_u32_e64 s[0:1], s19, v10
	v_cndmask_b32_e64 v10, v12, v11, s[0:1]
	v_add_co_u32_e64 v11, s[0:1], 2, v4
	v_addc_co_u32_e64 v12, s[0:1], 0, v9, s[0:1]
	v_add_co_u32_e64 v13, s[0:1], 1, v4
	v_addc_co_u32_e64 v14, s[0:1], 0, v9, s[0:1]
	v_subb_co_u32_e32 v8, vcc, v6, v8, vcc
	v_cmp_ne_u32_e64 s[0:1], 0, v10
	v_cmp_le_u32_e32 vcc, s19, v8
	v_cndmask_b32_e64 v10, v14, v12, s[0:1]
	v_cndmask_b32_e64 v12, 0, -1, vcc
	v_cmp_le_u32_e32 vcc, s18, v7
	v_cndmask_b32_e64 v7, 0, -1, vcc
	v_cmp_eq_u32_e32 vcc, s19, v8
	v_cndmask_b32_e32 v7, v12, v7, vcc
	v_cmp_ne_u32_e32 vcc, 0, v7
	v_cndmask_b32_e64 v7, v13, v11, s[0:1]
	v_cndmask_b32_e32 v8, v9, v10, vcc
	v_cndmask_b32_e32 v7, v4, v7, vcc
.LBB0_4:                                ;   in Loop: Header=BB0_2 Depth=1
	s_andn2_saveexec_b64 s[0:1], s[20:21]
	s_cbranch_execz .LBB0_6
; %bb.5:                                ;   in Loop: Header=BB0_2 Depth=1
	v_cvt_f32_u32_e32 v4, s18
	s_sub_i32 s20, 0, s18
	v_rcp_iflag_f32_e32 v4, v4
	v_mul_f32_e32 v4, 0x4f7ffffe, v4
	v_cvt_u32_f32_e32 v4, v4
	v_mul_lo_u32 v7, s20, v4
	v_mul_hi_u32 v7, v4, v7
	v_add_u32_e32 v4, v4, v7
	v_mul_hi_u32 v4, v5, v4
	v_mul_lo_u32 v7, v4, s18
	v_add_u32_e32 v8, 1, v4
	v_sub_u32_e32 v7, v5, v7
	v_subrev_u32_e32 v9, s18, v7
	v_cmp_le_u32_e32 vcc, s18, v7
	v_cndmask_b32_e32 v7, v7, v9, vcc
	v_cndmask_b32_e32 v4, v4, v8, vcc
	v_add_u32_e32 v8, 1, v4
	v_cmp_le_u32_e32 vcc, s18, v7
	v_cndmask_b32_e32 v7, v4, v8, vcc
	v_mov_b32_e32 v8, v3
.LBB0_6:                                ;   in Loop: Header=BB0_2 Depth=1
	s_or_b64 exec, exec, s[0:1]
	v_mul_lo_u32 v4, v8, s18
	v_mul_lo_u32 v11, v7, s19
	v_mad_u64_u32 v[9:10], s[0:1], v7, s18, 0
	s_load_dwordx2 s[0:1], s[6:7], 0x0
	s_add_u32 s16, s16, 1
	v_add3_u32 v4, v10, v11, v4
	v_sub_co_u32_e32 v5, vcc, v5, v9
	v_subb_co_u32_e32 v4, vcc, v6, v4, vcc
	s_waitcnt lgkmcnt(0)
	v_mul_lo_u32 v4, s0, v4
	v_mul_lo_u32 v6, s1, v5
	v_mad_u64_u32 v[1:2], s[0:1], s0, v5, v[1:2]
	s_addc_u32 s17, s17, 0
	s_add_u32 s6, s6, 8
	v_add3_u32 v2, v6, v2, v4
	v_mov_b32_e32 v4, s10
	v_mov_b32_e32 v5, s11
	s_addc_u32 s7, s7, 0
	v_cmp_ge_u64_e32 vcc, s[16:17], v[4:5]
	s_add_u32 s14, s14, 8
	s_addc_u32 s15, s15, 0
	s_cbranch_vccnz .LBB0_9
; %bb.7:                                ;   in Loop: Header=BB0_2 Depth=1
	v_mov_b32_e32 v5, v7
	v_mov_b32_e32 v6, v8
	s_branch .LBB0_2
.LBB0_8:
	v_mov_b32_e32 v8, v6
	v_mov_b32_e32 v7, v5
.LBB0_9:
	s_lshl_b64 s[0:1], s[10:11], 3
	s_add_u32 s0, s2, s0
	s_addc_u32 s1, s3, s1
	s_load_dwordx2 s[2:3], s[0:1], 0x0
	s_load_dwordx2 s[6:7], s[4:5], 0x20
	s_waitcnt lgkmcnt(0)
	v_mad_u64_u32 v[1:2], s[0:1], s2, v7, v[1:2]
	v_mul_lo_u32 v3, s2, v8
	v_mul_lo_u32 v4, s3, v7
	s_mov_b32 s0, 0x4924925
	v_mul_hi_u32 v5, v0, s0
	v_cmp_gt_u64_e64 s[0:1], s[6:7], v[7:8]
	v_add3_u32 v2, v4, v2, v3
	v_lshlrev_b64 v[86:87], 4, v[1:2]
	v_mul_u32_u24_e32 v3, 56, v5
	v_sub_u32_e32 v84, v0, v3
	s_and_saveexec_b64 s[2:3], s[0:1]
	s_cbranch_execz .LBB0_13
; %bb.10:
	v_mov_b32_e32 v85, 0
	v_mov_b32_e32 v0, s13
	v_add_co_u32_e32 v1, vcc, s12, v86
	v_lshlrev_b64 v[2:3], 4, v[84:85]
	v_addc_co_u32_e32 v0, vcc, v0, v87, vcc
	v_add_co_u32_e32 v50, vcc, v1, v2
	v_addc_co_u32_e32 v51, vcc, v0, v3, vcc
	s_movk_i32 s4, 0x1000
	v_or_b32_e32 v34, 0x1c0, v84
	v_mov_b32_e32 v35, v85
	v_add_co_u32_e32 v42, vcc, s4, v50
	v_lshlrev_b64 v[34:35], 4, v[34:35]
	v_addc_co_u32_e32 v43, vcc, 0, v51, vcc
	v_add_co_u32_e32 v44, vcc, v1, v34
	v_addc_co_u32_e32 v45, vcc, v0, v35, vcc
	s_movk_i32 s4, 0x2000
	v_add_co_u32_e32 v74, vcc, s4, v50
	v_addc_co_u32_e32 v75, vcc, 0, v51, vcc
	s_movk_i32 s4, 0x3000
	v_or_b32_e32 v52, 0x380, v84
	v_mov_b32_e32 v53, v85
	v_lshlrev_b64 v[52:53], 4, v[52:53]
	v_add_co_u32_e32 v76, vcc, s4, v50
	v_addc_co_u32_e32 v77, vcc, 0, v51, vcc
	v_add_co_u32_e32 v78, vcc, v1, v52
	global_load_dwordx4 v[2:5], v[50:51], off
	global_load_dwordx4 v[6:9], v[50:51], off offset:896
	global_load_dwordx4 v[10:13], v[50:51], off offset:1792
	;; [unrolled: 1-line block ×7, first 2 shown]
	global_load_dwordx4 v[34:37], v[44:45], off
	global_load_dwordx4 v[38:41], v[42:43], off offset:3968
	s_nop 0
	global_load_dwordx4 v[42:45], v[74:75], off offset:768
	global_load_dwordx4 v[46:49], v[74:75], off offset:1664
	v_addc_co_u32_e32 v79, vcc, v0, v53, vcc
	global_load_dwordx4 v[50:53], v[74:75], off offset:2560
	global_load_dwordx4 v[54:57], v[74:75], off offset:3456
	;; [unrolled: 1-line block ×4, first 2 shown]
	global_load_dwordx4 v[66:69], v[78:79], off
	global_load_dwordx4 v[70:73], v[76:77], off offset:2944
	v_lshl_add_u32 v74, v84, 4, 0
	v_cmp_eq_u32_e32 vcc, 55, v84
	s_waitcnt vmcnt(17)
	ds_write_b128 v74, v[2:5]
	s_waitcnt vmcnt(16)
	ds_write_b128 v74, v[6:9] offset:896
	s_waitcnt vmcnt(15)
	ds_write_b128 v74, v[10:13] offset:1792
	;; [unrolled: 2-line block ×17, first 2 shown]
	s_and_saveexec_b64 s[4:5], vcc
	s_cbranch_execz .LBB0_12
; %bb.11:
	v_add_co_u32_e32 v1, vcc, 0x3000, v1
	v_addc_co_u32_e32 v2, vcc, 0, v0, vcc
	global_load_dwordx4 v[0:3], v[1:2], off offset:3840
	v_mov_b32_e32 v84, 55
	s_waitcnt vmcnt(0)
	ds_write_b128 v85, v[0:3] offset:16128
.LBB0_12:
	s_or_b64 exec, exec, s[4:5]
.LBB0_13:
	s_or_b64 exec, exec, s[2:3]
	v_lshlrev_b32_e32 v0, 4, v84
	v_add_u32_e32 v90, 0, v0
	s_waitcnt lgkmcnt(0)
	; wave barrier
	s_waitcnt lgkmcnt(0)
	v_sub_u32_e32 v10, 0, v0
	ds_read_b64 v[6:7], v90
	ds_read_b64 v[8:9], v10 offset:16128
	s_add_u32 s4, s8, 0x3ee0
	s_addc_u32 s5, s9, 0
	v_cmp_ne_u32_e32 vcc, 0, v84
                                        ; implicit-def: $vgpr4_vgpr5
	s_waitcnt lgkmcnt(0)
	v_add_f64 v[0:1], v[6:7], v[8:9]
	v_add_f64 v[2:3], v[6:7], -v[8:9]
	s_and_saveexec_b64 s[2:3], vcc
	s_xor_b64 s[2:3], exec, s[2:3]
	s_cbranch_execz .LBB0_15
; %bb.14:
	v_mov_b32_e32 v85, 0
	v_lshlrev_b64 v[0:1], 4, v[84:85]
	v_mov_b32_e32 v2, s5
	v_add_co_u32_e32 v0, vcc, s4, v0
	v_addc_co_u32_e32 v1, vcc, v2, v1, vcc
	global_load_dwordx4 v[2:5], v[0:1], off
	ds_read_b64 v[0:1], v10 offset:16136
	ds_read_b64 v[11:12], v90 offset:8
	v_add_f64 v[13:14], v[6:7], v[8:9]
	v_add_f64 v[8:9], v[6:7], -v[8:9]
	s_waitcnt lgkmcnt(0)
	v_add_f64 v[15:16], v[0:1], v[11:12]
	v_add_f64 v[0:1], v[11:12], -v[0:1]
	s_waitcnt vmcnt(0)
	v_fma_f64 v[6:7], -v[8:9], v[4:5], v[13:14]
	v_fma_f64 v[11:12], v[15:16], v[4:5], -v[0:1]
	v_fma_f64 v[13:14], v[8:9], v[4:5], v[13:14]
	v_fma_f64 v[17:18], v[15:16], v[4:5], v[0:1]
	;; [unrolled: 1-line block ×4, first 2 shown]
	v_fma_f64 v[0:1], -v[15:16], v[2:3], v[13:14]
	v_fma_f64 v[2:3], v[8:9], v[2:3], v[17:18]
	ds_write_b128 v10, v[4:7] offset:16128
	v_mov_b32_e32 v4, v84
	v_mov_b32_e32 v5, v85
.LBB0_15:
	s_andn2_saveexec_b64 s[2:3], s[2:3]
	s_cbranch_execz .LBB0_17
; %bb.16:
	v_mov_b32_e32 v8, 0
	ds_read_b128 v[4:7], v8 offset:8064
	s_waitcnt lgkmcnt(0)
	v_add_f64 v[11:12], v[4:5], v[4:5]
	v_mul_f64 v[13:14], v[6:7], -2.0
	v_mov_b32_e32 v4, 0
	v_mov_b32_e32 v5, 0
	ds_write_b128 v8, v[11:14] offset:8064
.LBB0_17:
	s_or_b64 exec, exec, s[2:3]
	v_lshlrev_b64 v[4:5], 4, v[4:5]
	v_mov_b32_e32 v6, s5
	v_add_co_u32_e32 v23, vcc, s4, v4
	v_addc_co_u32_e32 v24, vcc, v6, v5, vcc
	global_load_dwordx4 v[4:7], v[23:24], off offset:896
	global_load_dwordx4 v[11:14], v[23:24], off offset:1792
	ds_write_b128 v90, v[0:3]
	ds_read_b128 v[0:3], v90 offset:896
	ds_read_b128 v[15:18], v10 offset:15232
	global_load_dwordx4 v[19:22], v[23:24], off offset:2688
	s_movk_i32 s2, 0x1000
	v_or_b32_e32 v88, 0x1c0, v84
	v_mov_b32_e32 v89, 0
	s_waitcnt lgkmcnt(0)
	v_add_f64 v[8:9], v[0:1], v[15:16]
	v_add_f64 v[25:26], v[17:18], v[2:3]
	v_add_f64 v[15:16], v[0:1], -v[15:16]
	v_add_f64 v[0:1], v[2:3], -v[17:18]
	v_add_u32_e32 v85, 0x70, v84
	v_lshl_add_u32 v95, v88, 5, 0
	s_movk_i32 s3, 0xfc
	s_movk_i32 s6, 0x2fc
	s_waitcnt vmcnt(2)
	v_fma_f64 v[2:3], v[15:16], v[6:7], v[8:9]
	v_fma_f64 v[17:18], v[25:26], v[6:7], v[0:1]
	v_fma_f64 v[8:9], -v[15:16], v[6:7], v[8:9]
	v_fma_f64 v[27:28], v[25:26], v[6:7], -v[0:1]
	v_fma_f64 v[0:1], -v[25:26], v[4:5], v[2:3]
	v_fma_f64 v[2:3], v[15:16], v[4:5], v[17:18]
	v_fma_f64 v[6:7], v[25:26], v[4:5], v[8:9]
	;; [unrolled: 1-line block ×3, first 2 shown]
	ds_write_b128 v90, v[0:3] offset:896
	ds_write_b128 v10, v[6:9] offset:15232
	ds_read_b128 v[0:3], v90 offset:1792
	ds_read_b128 v[4:7], v10 offset:14336
	global_load_dwordx4 v[15:18], v[23:24], off offset:3584
	s_waitcnt lgkmcnt(0)
	v_add_f64 v[8:9], v[0:1], v[4:5]
	v_add_f64 v[25:26], v[6:7], v[2:3]
	v_add_f64 v[27:28], v[0:1], -v[4:5]
	v_add_f64 v[0:1], v[2:3], -v[6:7]
	s_waitcnt vmcnt(2)
	v_fma_f64 v[2:3], v[27:28], v[13:14], v[8:9]
	v_fma_f64 v[4:5], v[25:26], v[13:14], v[0:1]
	v_fma_f64 v[6:7], -v[27:28], v[13:14], v[8:9]
	v_fma_f64 v[8:9], v[25:26], v[13:14], -v[0:1]
	v_fma_f64 v[0:1], -v[25:26], v[11:12], v[2:3]
	v_fma_f64 v[2:3], v[27:28], v[11:12], v[4:5]
	v_fma_f64 v[4:5], v[25:26], v[11:12], v[6:7]
	;; [unrolled: 1-line block ×3, first 2 shown]
	v_add_co_u32_e32 v8, vcc, s2, v23
	ds_write_b128 v90, v[0:3] offset:1792
	ds_write_b128 v10, v[4:7] offset:14336
	v_addc_co_u32_e32 v9, vcc, 0, v24, vcc
	ds_read_b128 v[0:3], v90 offset:2688
	ds_read_b128 v[4:7], v10 offset:13440
	global_load_dwordx4 v[11:14], v[8:9], off offset:384
	s_movk_i32 s2, 0x7c
	s_waitcnt lgkmcnt(0)
	v_add_f64 v[23:24], v[0:1], v[4:5]
	v_add_f64 v[25:26], v[6:7], v[2:3]
	v_add_f64 v[27:28], v[0:1], -v[4:5]
	v_add_f64 v[0:1], v[2:3], -v[6:7]
	s_waitcnt vmcnt(2)
	v_fma_f64 v[2:3], v[27:28], v[21:22], v[23:24]
	v_fma_f64 v[4:5], v[25:26], v[21:22], v[0:1]
	v_fma_f64 v[6:7], -v[27:28], v[21:22], v[23:24]
	v_fma_f64 v[21:22], v[25:26], v[21:22], -v[0:1]
	v_fma_f64 v[0:1], -v[25:26], v[19:20], v[2:3]
	v_fma_f64 v[2:3], v[27:28], v[19:20], v[4:5]
	v_fma_f64 v[4:5], v[25:26], v[19:20], v[6:7]
	;; [unrolled: 1-line block ×3, first 2 shown]
	ds_write_b128 v90, v[0:3] offset:2688
	ds_write_b128 v10, v[4:7] offset:13440
	ds_read_b128 v[0:3], v90 offset:3584
	ds_read_b128 v[4:7], v10 offset:12544
	global_load_dwordx4 v[19:22], v[8:9], off offset:1280
	s_waitcnt lgkmcnt(0)
	v_add_f64 v[23:24], v[0:1], v[4:5]
	v_add_f64 v[25:26], v[6:7], v[2:3]
	v_add_f64 v[27:28], v[0:1], -v[4:5]
	v_add_f64 v[0:1], v[2:3], -v[6:7]
	s_waitcnt vmcnt(2)
	v_fma_f64 v[2:3], v[27:28], v[17:18], v[23:24]
	v_fma_f64 v[4:5], v[25:26], v[17:18], v[0:1]
	v_fma_f64 v[6:7], -v[27:28], v[17:18], v[23:24]
	v_fma_f64 v[17:18], v[25:26], v[17:18], -v[0:1]
	v_fma_f64 v[0:1], -v[25:26], v[15:16], v[2:3]
	v_fma_f64 v[2:3], v[27:28], v[15:16], v[4:5]
	v_fma_f64 v[4:5], v[25:26], v[15:16], v[6:7]
	;; [unrolled: 1-line block ×3, first 2 shown]
	ds_write_b128 v90, v[0:3] offset:3584
	ds_write_b128 v10, v[4:7] offset:12544
	ds_read_b128 v[0:3], v90 offset:4480
	ds_read_b128 v[4:7], v10 offset:11648
	global_load_dwordx4 v[15:18], v[8:9], off offset:2176
	s_waitcnt lgkmcnt(0)
	v_add_f64 v[8:9], v[0:1], v[4:5]
	v_add_f64 v[23:24], v[6:7], v[2:3]
	v_add_f64 v[25:26], v[0:1], -v[4:5]
	v_add_f64 v[0:1], v[2:3], -v[6:7]
	s_waitcnt vmcnt(2)
	v_fma_f64 v[2:3], v[25:26], v[13:14], v[8:9]
	v_fma_f64 v[4:5], v[23:24], v[13:14], v[0:1]
	v_fma_f64 v[6:7], -v[25:26], v[13:14], v[8:9]
	v_fma_f64 v[8:9], v[23:24], v[13:14], -v[0:1]
	v_fma_f64 v[0:1], -v[23:24], v[11:12], v[2:3]
	v_fma_f64 v[2:3], v[25:26], v[11:12], v[4:5]
	v_fma_f64 v[4:5], v[23:24], v[11:12], v[6:7]
	;; [unrolled: 1-line block ×3, first 2 shown]
	v_lshlrev_b64 v[8:9], 4, v[88:89]
	v_mov_b32_e32 v23, s5
	ds_write_b128 v90, v[0:3] offset:4480
	ds_write_b128 v10, v[4:7] offset:11648
	v_add_co_u32_e32 v0, vcc, s4, v8
	v_addc_co_u32_e32 v1, vcc, v23, v9, vcc
	ds_read_b128 v[4:7], v90 offset:5376
	ds_read_b128 v[11:14], v10 offset:10752
	global_load_dwordx4 v[0:3], v[0:1], off
	s_movk_i32 s4, 0x1fc
	s_movk_i32 s5, 0x3fc
	v_cmp_gt_u32_e32 vcc, 48, v84
	s_waitcnt lgkmcnt(0)
	v_add_f64 v[8:9], v[4:5], v[11:12]
	v_add_f64 v[23:24], v[13:14], v[6:7]
	v_add_f64 v[25:26], v[4:5], -v[11:12]
	v_add_f64 v[4:5], v[6:7], -v[13:14]
	s_waitcnt vmcnt(2)
	v_fma_f64 v[6:7], v[25:26], v[21:22], v[8:9]
	v_fma_f64 v[11:12], v[23:24], v[21:22], v[4:5]
	v_fma_f64 v[8:9], -v[25:26], v[21:22], v[8:9]
	v_fma_f64 v[13:14], v[23:24], v[21:22], -v[4:5]
	v_fma_f64 v[4:5], -v[23:24], v[19:20], v[6:7]
	v_fma_f64 v[6:7], v[25:26], v[19:20], v[11:12]
	v_fma_f64 v[11:12], v[23:24], v[19:20], v[8:9]
	;; [unrolled: 1-line block ×3, first 2 shown]
	ds_write_b128 v90, v[4:7] offset:5376
	ds_write_b128 v10, v[11:14] offset:10752
	ds_read_b128 v[4:7], v90 offset:6272
	ds_read_b128 v[11:14], v10 offset:9856
	s_waitcnt lgkmcnt(0)
	v_add_f64 v[8:9], v[4:5], v[11:12]
	v_add_f64 v[19:20], v[13:14], v[6:7]
	v_add_f64 v[21:22], v[4:5], -v[11:12]
	v_add_f64 v[4:5], v[6:7], -v[13:14]
	s_waitcnt vmcnt(1)
	v_fma_f64 v[6:7], v[21:22], v[17:18], v[8:9]
	v_fma_f64 v[11:12], v[19:20], v[17:18], v[4:5]
	v_fma_f64 v[8:9], -v[21:22], v[17:18], v[8:9]
	v_fma_f64 v[13:14], v[19:20], v[17:18], -v[4:5]
	v_fma_f64 v[4:5], -v[19:20], v[15:16], v[6:7]
	v_fma_f64 v[6:7], v[21:22], v[15:16], v[11:12]
	v_fma_f64 v[11:12], v[19:20], v[15:16], v[8:9]
	;; [unrolled: 1-line block ×3, first 2 shown]
	ds_write_b128 v90, v[4:7] offset:6272
	ds_write_b128 v10, v[11:14] offset:9856
	ds_read_b128 v[11:14], v90 offset:7168
	ds_read_b128 v[15:18], v10 offset:8960
	v_add_u32_e32 v7, 56, v84
	v_add_u32_e32 v6, 0xa8, v84
	;; [unrolled: 1-line block ×4, first 2 shown]
	s_waitcnt lgkmcnt(0)
	v_add_f64 v[19:20], v[11:12], v[15:16]
	v_add_f64 v[21:22], v[17:18], v[13:14]
	v_add_f64 v[23:24], v[11:12], -v[15:16]
	v_add_f64 v[11:12], v[13:14], -v[17:18]
	v_lshl_add_u32 v15, v7, 5, 0
	v_lshl_add_u32 v17, v85, 5, 0
	v_add_u32_e32 v9, 0x150, v84
	v_add_u32_e32 v16, 0x188, v84
	v_and_b32_e32 v18, 1, v84
	v_lshl_add_u32 v83, v6, 5, 0
	s_waitcnt vmcnt(0)
	v_fma_f64 v[13:14], v[23:24], v[2:3], v[19:20]
	v_fma_f64 v[25:26], v[21:22], v[2:3], v[11:12]
	v_fma_f64 v[19:20], -v[23:24], v[2:3], v[19:20]
	v_fma_f64 v[2:3], v[21:22], v[2:3], -v[11:12]
	v_lshl_add_u32 v8, v84, 4, v90
	v_lshl_add_u32 v91, v5, 5, 0
	;; [unrolled: 1-line block ×4, first 2 shown]
	v_fma_f64 v[11:12], -v[21:22], v[0:1], v[13:14]
	v_fma_f64 v[13:14], v[23:24], v[0:1], v[25:26]
	v_fma_f64 v[19:20], v[21:22], v[0:1], v[19:20]
	;; [unrolled: 1-line block ×3, first 2 shown]
	ds_write_b128 v90, v[11:14] offset:7168
	ds_write_b128 v10, v[19:22] offset:8960
	s_waitcnt lgkmcnt(0)
	; wave barrier
	s_waitcnt lgkmcnt(0)
	s_waitcnt lgkmcnt(0)
	; wave barrier
	s_waitcnt lgkmcnt(0)
	ds_read_b128 v[0:3], v90
	ds_read_b128 v[10:13], v90 offset:896
	ds_read_b128 v[19:22], v90 offset:8960
	;; [unrolled: 1-line block ×17, first 2 shown]
	s_waitcnt lgkmcnt(14)
	v_add_f64 v[19:20], v[10:11], -v[19:20]
	s_waitcnt lgkmcnt(3)
	v_add_f64 v[67:68], v[0:1], -v[67:68]
	v_add_f64 v[69:70], v[2:3], -v[69:70]
	;; [unrolled: 1-line block ×13, first 2 shown]
	s_waitcnt lgkmcnt(1)
	v_add_f64 v[75:76], v[63:64], -v[75:76]
	v_add_f64 v[77:78], v[65:66], -v[77:78]
	s_waitcnt lgkmcnt(0)
	v_add_f64 v[79:80], v[71:72], -v[79:80]
	v_add_f64 v[81:82], v[73:74], -v[81:82]
	v_fma_f64 v[0:1], v[0:1], 2.0, -v[67:68]
	v_fma_f64 v[2:3], v[2:3], 2.0, -v[69:70]
	v_fma_f64 v[10:11], v[10:11], 2.0, -v[19:20]
	v_fma_f64 v[12:13], v[12:13], 2.0, -v[21:22]
	s_waitcnt lgkmcnt(0)
	; wave barrier
	ds_write_b128 v15, v[19:22] offset:16
	v_fma_f64 v[19:20], v[27:28], 2.0, -v[23:24]
	v_fma_f64 v[21:22], v[29:30], 2.0, -v[25:26]
	ds_write_b128 v17, v[23:26] offset:16
	v_fma_f64 v[23:24], v[31:32], 2.0, -v[35:36]
	v_fma_f64 v[25:26], v[33:34], 2.0, -v[37:38]
	;; [unrolled: 1-line block ×6, first 2 shown]
	v_lshl_add_u32 v94, v16, 5, 0
	v_lshlrev_b32_e32 v96, 4, v18
	ds_write_b128 v83, v[35:38] offset:16
	v_fma_f64 v[35:36], v[59:60], 2.0, -v[55:56]
	v_fma_f64 v[37:38], v[61:62], 2.0, -v[57:58]
	ds_write_b128 v8, v[67:70] offset:16
	ds_write_b128 v91, v[39:42] offset:16
	;; [unrolled: 1-line block ×4, first 2 shown]
	v_fma_f64 v[39:40], v[63:64], 2.0, -v[75:76]
	v_fma_f64 v[41:42], v[65:66], 2.0, -v[77:78]
	ds_write_b128 v94, v[75:78] offset:16
	v_fma_f64 v[43:44], v[71:72], 2.0, -v[79:80]
	v_fma_f64 v[45:46], v[73:74], 2.0, -v[81:82]
	ds_write_b128 v95, v[79:82] offset:16
	ds_write_b128 v8, v[0:3]
	ds_write_b128 v15, v[10:13]
	;; [unrolled: 1-line block ×9, first 2 shown]
	s_waitcnt lgkmcnt(0)
	; wave barrier
	s_waitcnt lgkmcnt(0)
	global_load_dwordx4 v[0:3], v96, s[8:9]
	v_lshlrev_b32_e32 v8, 1, v84
	v_and_or_b32 v19, v8, s2, v18
	v_lshlrev_b32_e32 v10, 1, v7
	v_lshlrev_b32_e32 v11, 1, v85
	;; [unrolled: 1-line block ×8, first 2 shown]
	v_lshl_add_u32 v115, v19, 4, 0
	v_and_or_b32 v19, v10, s3, v18
	v_and_or_b32 v20, v11, s4, v18
	;; [unrolled: 1-line block ×8, first 2 shown]
	v_lshl_add_u32 v116, v19, 4, 0
	v_lshl_add_u32 v117, v20, 4, 0
	;; [unrolled: 1-line block ×8, first 2 shown]
	ds_read_b128 v[18:21], v90 offset:8960
	ds_read_b128 v[22:25], v90 offset:9856
	;; [unrolled: 1-line block ×10, first 2 shown]
	ds_read_b128 v[58:61], v90
	ds_read_b128 v[62:65], v90 offset:896
	ds_read_b128 v[66:69], v90 offset:1792
	;; [unrolled: 1-line block ×7, first 2 shown]
	s_waitcnt lgkmcnt(0)
	; wave barrier
	s_waitcnt lgkmcnt(0)
	v_and_b32_e32 v17, 3, v84
	v_lshlrev_b32_e32 v88, 4, v17
	s_movk_i32 s2, 0x78
	s_movk_i32 s3, 0xf8
	;; [unrolled: 1-line block ×5, first 2 shown]
	s_waitcnt vmcnt(0)
	v_mul_f64 v[82:83], v[52:53], v[2:3]
	v_mul_f64 v[99:100], v[50:51], v[2:3]
	;; [unrolled: 1-line block ×9, first 2 shown]
	v_fma_f64 v[50:51], v[50:51], v[0:1], v[82:83]
	v_mul_f64 v[82:83], v[30:31], v[2:3]
	v_fma_f64 v[52:53], v[52:53], v[0:1], -v[99:100]
	v_mul_f64 v[99:100], v[36:37], v[2:3]
	v_fma_f64 v[18:19], v[18:19], v[0:1], v[101:102]
	v_fma_f64 v[20:21], v[20:21], v[0:1], -v[103:104]
	v_mul_f64 v[101:102], v[34:35], v[2:3]
	v_mul_f64 v[103:104], v[40:41], v[2:3]
	v_fma_f64 v[22:23], v[22:23], v[0:1], v[105:106]
	v_fma_f64 v[24:25], v[24:25], v[0:1], -v[107:108]
	v_mul_f64 v[105:106], v[38:39], v[2:3]
	;; [unrolled: 4-line block ×3, first 2 shown]
	v_mul_f64 v[111:112], v[48:49], v[2:3]
	v_mul_f64 v[2:3], v[46:47], v[2:3]
	v_fma_f64 v[30:31], v[30:31], v[0:1], v[113:114]
	v_fma_f64 v[32:33], v[32:33], v[0:1], -v[82:83]
	v_fma_f64 v[34:35], v[34:35], v[0:1], v[99:100]
	v_fma_f64 v[36:37], v[36:37], v[0:1], -v[101:102]
	v_fma_f64 v[38:39], v[38:39], v[0:1], v[103:104]
	v_fma_f64 v[40:41], v[40:41], v[0:1], -v[105:106]
	v_fma_f64 v[42:43], v[42:43], v[0:1], v[107:108]
	v_fma_f64 v[44:45], v[44:45], v[0:1], -v[109:110]
	v_fma_f64 v[46:47], v[46:47], v[0:1], v[111:112]
	v_fma_f64 v[48:49], v[48:49], v[0:1], -v[2:3]
	v_add_f64 v[0:1], v[58:59], -v[50:51]
	v_add_f64 v[2:3], v[60:61], -v[52:53]
	;; [unrolled: 1-line block ×18, first 2 shown]
	v_fma_f64 v[50:51], v[58:59], 2.0, -v[0:1]
	v_fma_f64 v[52:53], v[60:61], 2.0, -v[2:3]
	ds_write_b128 v115, v[0:3] offset:32
	v_fma_f64 v[0:1], v[62:63], 2.0, -v[18:19]
	v_fma_f64 v[2:3], v[64:65], 2.0, -v[20:21]
	;; [unrolled: 1-line block ×16, first 2 shown]
	ds_write_b128 v115, v[50:53]
	ds_write_b128 v116, v[0:3]
	ds_write_b128 v116, v[18:21] offset:32
	ds_write_b128 v117, v[58:61]
	ds_write_b128 v117, v[22:25] offset:32
	;; [unrolled: 2-line block ×8, first 2 shown]
	s_waitcnt lgkmcnt(0)
	; wave barrier
	s_waitcnt lgkmcnt(0)
	global_load_dwordx4 v[0:3], v88, s[8:9] offset:32
	v_and_or_b32 v19, v8, s2, v17
	v_lshl_add_u32 v88, v19, 4, 0
	v_and_or_b32 v19, v10, s3, v17
	v_and_or_b32 v20, v11, s4, v17
	;; [unrolled: 1-line block ×7, first 2 shown]
	v_lshl_add_u32 v117, v19, 4, 0
	v_lshl_add_u32 v118, v20, 4, 0
	;; [unrolled: 1-line block ×7, first 2 shown]
	ds_read_b128 v[19:22], v90 offset:8960
	ds_read_b128 v[23:26], v90 offset:9856
	;; [unrolled: 1-line block ×10, first 2 shown]
	ds_read_b128 v[59:62], v90
	ds_read_b128 v[63:66], v90 offset:896
	ds_read_b128 v[67:70], v90 offset:1792
	;; [unrolled: 1-line block ×7, first 2 shown]
	s_waitcnt lgkmcnt(0)
	; wave barrier
	s_waitcnt lgkmcnt(0)
	v_and_b32_e32 v18, 7, v84
	v_lshlrev_b32_e32 v83, 4, v18
	v_and_or_b32 v17, v9, s5, v17
	v_lshl_add_u32 v17, v17, 4, 0
	s_movk_i32 s3, 0xf0
	s_movk_i32 s4, 0x1f0
	s_movk_i32 s5, 0x3f0
	s_movk_i32 s6, 0x2f0
	v_and_or_b32 v10, v10, s3, v18
	v_and_or_b32 v11, v11, s4, v18
	;; [unrolled: 1-line block ×7, first 2 shown]
	s_movk_i32 s2, 0x70
	v_and_or_b32 v8, v8, s2, v18
	v_lshl_add_u32 v8, v8, 4, 0
	s_mov_b32 s2, 0xe8584caa
	s_mov_b32 s3, 0xbfebb67a
	;; [unrolled: 1-line block ×3, first 2 shown]
	s_movk_i32 s6, 0xab
	s_waitcnt vmcnt(0)
	v_mul_f64 v[99:100], v[53:54], v[2:3]
	v_mul_f64 v[101:102], v[51:52], v[2:3]
	;; [unrolled: 1-line block ×9, first 2 shown]
	v_fma_f64 v[51:52], v[51:52], v[0:1], v[99:100]
	v_mul_f64 v[99:100], v[31:32], v[2:3]
	v_fma_f64 v[53:54], v[53:54], v[0:1], -v[101:102]
	v_mul_f64 v[101:102], v[37:38], v[2:3]
	v_fma_f64 v[19:20], v[19:20], v[0:1], v[103:104]
	v_fma_f64 v[21:22], v[21:22], v[0:1], -v[105:106]
	v_mul_f64 v[103:104], v[35:36], v[2:3]
	v_mul_f64 v[105:106], v[41:42], v[2:3]
	v_fma_f64 v[23:24], v[23:24], v[0:1], v[107:108]
	v_fma_f64 v[25:26], v[25:26], v[0:1], -v[109:110]
	v_mul_f64 v[107:108], v[39:40], v[2:3]
	;; [unrolled: 4-line block ×3, first 2 shown]
	v_mul_f64 v[113:114], v[49:50], v[2:3]
	v_mul_f64 v[2:3], v[47:48], v[2:3]
	v_fma_f64 v[31:32], v[31:32], v[0:1], v[115:116]
	v_fma_f64 v[33:34], v[33:34], v[0:1], -v[99:100]
	v_fma_f64 v[35:36], v[35:36], v[0:1], v[101:102]
	v_fma_f64 v[37:38], v[37:38], v[0:1], -v[103:104]
	;; [unrolled: 2-line block ×5, first 2 shown]
	v_add_f64 v[0:1], v[59:60], -v[51:52]
	v_add_f64 v[2:3], v[61:62], -v[53:54]
	;; [unrolled: 1-line block ×18, first 2 shown]
	v_fma_f64 v[51:52], v[59:60], 2.0, -v[0:1]
	v_fma_f64 v[53:54], v[61:62], 2.0, -v[2:3]
	ds_write_b128 v88, v[0:3] offset:64
	v_fma_f64 v[0:1], v[63:64], 2.0, -v[19:20]
	v_fma_f64 v[2:3], v[65:66], 2.0, -v[21:22]
	;; [unrolled: 1-line block ×16, first 2 shown]
	ds_write_b128 v88, v[51:54]
	ds_write_b128 v117, v[0:3]
	ds_write_b128 v117, v[19:22] offset:64
	ds_write_b128 v118, v[59:62]
	ds_write_b128 v118, v[23:26] offset:64
	;; [unrolled: 2-line block ×8, first 2 shown]
	s_waitcnt lgkmcnt(0)
	; wave barrier
	s_waitcnt lgkmcnt(0)
	global_load_dwordx4 v[0:3], v83, s[8:9] offset:96
	v_lshl_add_u32 v83, v10, 4, 0
	v_lshl_add_u32 v88, v11, 4, 0
	;; [unrolled: 1-line block ×7, first 2 shown]
	ds_read_b128 v[10:13], v90 offset:8960
	ds_read_b128 v[14:17], v90 offset:9856
	ds_read_b128 v[19:22], v90 offset:10752
	ds_read_b128 v[23:26], v90 offset:11648
	ds_read_b128 v[27:30], v90 offset:12544
	ds_read_b128 v[31:34], v90 offset:13440
	ds_read_b128 v[35:38], v90 offset:14336
	ds_read_b128 v[39:42], v90 offset:15232
	ds_read_b128 v[43:46], v90 offset:8064
	ds_read_b128 v[47:50], v90 offset:7168
	ds_read_b128 v[51:54], v90
	ds_read_b128 v[55:58], v90 offset:896
	ds_read_b128 v[59:62], v90 offset:1792
	;; [unrolled: 1-line block ×7, first 2 shown]
	s_waitcnt lgkmcnt(0)
	; wave barrier
	s_waitcnt vmcnt(0) lgkmcnt(0)
	v_mul_f64 v[91:92], v[45:46], v[2:3]
	v_mul_f64 v[93:94], v[43:44], v[2:3]
	;; [unrolled: 1-line block ×14, first 2 shown]
	v_fma_f64 v[43:44], v[43:44], v[0:1], v[91:92]
	v_fma_f64 v[45:46], v[45:46], v[0:1], -v[93:94]
	v_mul_f64 v[91:92], v[37:38], v[2:3]
	v_mul_f64 v[93:94], v[35:36], v[2:3]
	v_fma_f64 v[10:11], v[10:11], v[0:1], v[95:96]
	v_mul_f64 v[95:96], v[41:42], v[2:3]
	v_mul_f64 v[2:3], v[39:40], v[2:3]
	v_fma_f64 v[12:13], v[12:13], v[0:1], -v[97:98]
	v_fma_f64 v[14:15], v[14:15], v[0:1], v[99:100]
	v_fma_f64 v[16:17], v[16:17], v[0:1], -v[101:102]
	v_fma_f64 v[19:20], v[19:20], v[0:1], v[103:104]
	;; [unrolled: 2-line block ×3, first 2 shown]
	v_fma_f64 v[39:40], v[39:40], v[0:1], v[95:96]
	v_fma_f64 v[41:42], v[41:42], v[0:1], -v[2:3]
	v_fma_f64 v[25:26], v[25:26], v[0:1], -v[109:110]
	v_fma_f64 v[27:28], v[27:28], v[0:1], v[111:112]
	v_fma_f64 v[29:30], v[29:30], v[0:1], -v[113:114]
	v_fma_f64 v[31:32], v[31:32], v[0:1], v[115:116]
	;; [unrolled: 2-line block ×3, first 2 shown]
	v_fma_f64 v[37:38], v[37:38], v[0:1], -v[93:94]
	v_add_f64 v[0:1], v[51:52], -v[43:44]
	v_add_f64 v[2:3], v[53:54], -v[45:46]
	;; [unrolled: 1-line block ×18, first 2 shown]
	v_fma_f64 v[43:44], v[51:52], 2.0, -v[0:1]
	v_fma_f64 v[45:46], v[53:54], 2.0, -v[2:3]
	ds_write_b128 v8, v[0:3] offset:128
	v_fma_f64 v[0:1], v[55:56], 2.0, -v[10:11]
	v_fma_f64 v[2:3], v[57:58], 2.0, -v[12:13]
	;; [unrolled: 1-line block ×16, first 2 shown]
	ds_write_b128 v8, v[43:46]
	ds_write_b128 v83, v[0:3]
	ds_write_b128 v83, v[10:13] offset:128
	ds_write_b128 v88, v[51:54]
	ds_write_b128 v88, v[14:17] offset:128
	;; [unrolled: 2-line block ×7, first 2 shown]
	v_and_or_b32 v0, v9, s5, v18
	v_lshl_add_u32 v0, v0, 4, 0
	v_and_b32_e32 v2, 15, v6
	ds_write_b128 v0, v[47:50]
	ds_write_b128 v0, v[39:42] offset:128
	v_lshlrev_b32_e32 v0, 5, v2
	s_waitcnt lgkmcnt(0)
	; wave barrier
	s_waitcnt lgkmcnt(0)
	global_load_dwordx4 v[8:11], v0, s[8:9] offset:224
	global_load_dwordx4 v[12:15], v0, s[8:9] offset:240
	v_and_b32_e32 v0, 15, v84
	v_lshlrev_b32_e32 v1, 5, v0
	global_load_dwordx4 v[16:19], v1, s[8:9] offset:224
	global_load_dwordx4 v[20:23], v1, s[8:9] offset:240
	v_and_b32_e32 v1, 15, v4
	v_lshlrev_b32_e32 v3, 5, v1
	global_load_dwordx2 v[99:100], v3, s[8:9] offset:248
	global_load_dwordx4 v[24:27], v3, s[8:9] offset:240
	global_load_dwordx4 v[28:31], v3, s[8:9] offset:232
	;; [unrolled: 1-line block ×3, first 2 shown]
	v_and_b32_e32 v3, 15, v7
	v_lshlrev_b32_e32 v36, 5, v3
	global_load_dwordx2 v[101:102], v36, s[8:9] offset:224
	v_lshrrev_b32_e32 v36, 4, v84
	v_mul_u32_u24_e32 v36, 48, v36
	v_or_b32_e32 v36, v36, v0
	v_lshl_add_u32 v88, v36, 4, 0
	ds_read_b128 v[36:39], v90 offset:8064
	ds_read_b128 v[40:43], v90 offset:7168
	;; [unrolled: 1-line block ×12, first 2 shown]
	ds_read_b128 v[91:94], v90
	ds_read_b128 v[95:98], v90 offset:896
	s_mov_b32 s5, 0x3febb67a
	s_waitcnt vmcnt(8) lgkmcnt(13)
	v_mul_f64 v[103:104], v[38:39], v[10:11]
	v_mul_f64 v[10:11], v[36:37], v[10:11]
	s_waitcnt vmcnt(7) lgkmcnt(11)
	v_mul_f64 v[105:106], v[46:47], v[14:15]
	v_mul_f64 v[14:15], v[44:45], v[14:15]
	s_waitcnt vmcnt(6) lgkmcnt(3)
	v_mul_f64 v[107:108], v[78:79], v[18:19]
	v_mul_f64 v[109:110], v[76:77], v[18:19]
	v_mul_f64 v[111:112], v[42:43], v[18:19]
	v_mul_f64 v[113:114], v[40:41], v[18:19]
	v_fma_f64 v[36:37], v[36:37], v[8:9], v[103:104]
	v_fma_f64 v[38:39], v[38:39], v[8:9], -v[10:11]
	s_waitcnt vmcnt(5)
	v_mul_f64 v[8:9], v[62:63], v[22:23]
	v_mul_f64 v[10:11], v[60:61], v[22:23]
	;; [unrolled: 1-line block ×4, first 2 shown]
	v_fma_f64 v[44:45], v[44:45], v[12:13], v[105:106]
	v_fma_f64 v[46:47], v[46:47], v[12:13], -v[14:15]
	v_mul_f64 v[12:13], v[54:55], v[22:23]
	v_mul_f64 v[14:15], v[52:53], v[22:23]
	v_fma_f64 v[76:77], v[76:77], v[16:17], v[107:108]
	v_fma_f64 v[78:79], v[78:79], v[16:17], -v[109:110]
	v_fma_f64 v[8:9], v[60:61], v[20:21], v[8:9]
	v_fma_f64 v[10:11], v[62:63], v[20:21], -v[10:11]
	s_waitcnt vmcnt(3)
	v_mul_f64 v[105:106], v[66:67], v[26:27]
	v_mul_f64 v[26:27], v[64:65], v[26:27]
	s_waitcnt vmcnt(2)
	v_mul_f64 v[107:108], v[74:75], v[28:29]
	v_fma_f64 v[40:41], v[40:41], v[16:17], v[111:112]
	v_fma_f64 v[42:43], v[42:43], v[16:17], -v[113:114]
	v_fma_f64 v[68:69], v[68:69], v[16:17], v[115:116]
	v_fma_f64 v[70:71], v[70:71], v[16:17], -v[18:19]
	s_waitcnt vmcnt(1) lgkmcnt(2)
	v_mul_f64 v[16:17], v[80:81], v[34:35]
	v_mul_f64 v[109:110], v[82:83], v[34:35]
	;; [unrolled: 1-line block ×6, first 2 shown]
	v_fma_f64 v[52:53], v[52:53], v[20:21], v[12:13]
	v_fma_f64 v[54:55], v[54:55], v[20:21], -v[14:15]
	v_add_f64 v[12:13], v[76:77], v[8:9]
	v_add_f64 v[14:15], v[78:79], v[10:11]
	v_mul_f64 v[28:29], v[72:73], v[28:29]
	v_fma_f64 v[60:61], v[64:65], v[30:31], v[105:106]
	v_fma_f64 v[62:63], v[66:67], v[30:31], -v[26:27]
	v_fma_f64 v[64:65], v[72:73], v[32:33], v[107:108]
	s_waitcnt vmcnt(0)
	v_fma_f64 v[72:73], v[82:83], v[101:102], -v[16:17]
	v_fma_f64 v[66:67], v[80:81], v[101:102], v[109:110]
	s_waitcnt lgkmcnt(1)
	v_add_f64 v[16:17], v[93:94], v[78:79]
	v_add_f64 v[18:19], v[91:92], v[76:77]
	v_fma_f64 v[48:49], v[48:49], v[20:21], v[103:104]
	v_fma_f64 v[50:51], v[50:51], v[20:21], -v[117:118]
	v_fma_f64 v[56:57], v[56:57], v[24:25], v[22:23]
	v_fma_f64 v[58:59], v[58:59], v[24:25], -v[99:100]
	v_add_f64 v[20:21], v[78:79], -v[10:11]
	v_fma_f64 v[22:23], v[12:13], -0.5, v[91:92]
	v_add_f64 v[24:25], v[76:77], -v[8:9]
	v_fma_f64 v[26:27], v[14:15], -0.5, v[93:94]
	v_add_f64 v[78:79], v[72:73], v[62:63]
	v_add_f64 v[10:11], v[16:17], v[10:11]
	;; [unrolled: 1-line block ×3, first 2 shown]
	s_waitcnt lgkmcnt(0)
	v_add_f64 v[82:83], v[95:96], v[66:67]
	v_add_f64 v[80:81], v[97:98], v[72:73]
	v_fma_f64 v[12:13], v[20:21], s[2:3], v[22:23]
	v_fma_f64 v[16:17], v[20:21], s[4:5], v[22:23]
	;; [unrolled: 1-line block ×4, first 2 shown]
	v_add_f64 v[76:77], v[66:67], v[60:61]
	v_fma_f64 v[78:79], v[78:79], -0.5, v[97:98]
	v_add_f64 v[66:67], v[66:67], -v[60:61]
	v_fma_f64 v[74:75], v[74:75], v[32:33], -v[28:29]
	ds_read_b128 v[20:23], v90 offset:1792
	ds_read_b128 v[24:27], v90 offset:2688
	;; [unrolled: 1-line block ×4, first 2 shown]
	s_waitcnt lgkmcnt(0)
	; wave barrier
	s_waitcnt lgkmcnt(0)
	ds_write_b128 v88, v[8:11]
	ds_write_b128 v88, v[12:15] offset:256
	ds_write_b128 v88, v[16:19] offset:512
	v_add_f64 v[8:9], v[82:83], v[60:61]
	v_add_f64 v[60:61], v[40:41], v[48:49]
	v_add_f64 v[72:73], v[72:73], -v[62:63]
	v_add_f64 v[10:11], v[80:81], v[62:63]
	v_lshrrev_b32_e32 v62, 4, v7
	v_fma_f64 v[76:77], v[76:77], -0.5, v[95:96]
	v_fma_f64 v[14:15], v[66:67], s[4:5], v[78:79]
	v_fma_f64 v[18:19], v[66:67], s[2:3], v[78:79]
	v_mul_u32_u24_e32 v66, 48, v62
	v_add_f64 v[62:63], v[42:43], v[50:51]
	v_fma_f64 v[60:61], v[60:61], -0.5, v[20:21]
	v_add_f64 v[20:21], v[20:21], v[40:41]
	v_or_b32_e32 v3, v66, v3
	v_fma_f64 v[12:13], v[72:73], s[2:3], v[76:77]
	v_add_f64 v[66:67], v[22:23], v[42:43]
	v_add_f64 v[40:41], v[40:41], -v[48:49]
	v_fma_f64 v[16:17], v[72:73], s[4:5], v[76:77]
	v_fma_f64 v[22:23], v[62:63], -0.5, v[22:23]
	v_lshl_add_u32 v3, v3, 4, 0
	v_add_f64 v[42:43], v[42:43], -v[50:51]
	ds_write_b128 v3, v[8:11]
	v_add_f64 v[8:9], v[20:21], v[48:49]
	v_add_f64 v[20:21], v[36:37], v[44:45]
	ds_write_b128 v3, v[12:15] offset:256
	ds_write_b128 v3, v[16:19] offset:512
	v_add_f64 v[10:11], v[66:67], v[50:51]
	v_fma_f64 v[14:15], v[40:41], s[4:5], v[22:23]
	v_fma_f64 v[18:19], v[40:41], s[2:3], v[22:23]
	v_add_f64 v[22:23], v[38:39], v[46:47]
	v_fma_f64 v[12:13], v[42:43], s[2:3], v[60:61]
	v_add_f64 v[40:41], v[26:27], v[38:39]
	v_fma_f64 v[20:21], v[20:21], -0.5, v[24:25]
	v_add_f64 v[38:39], v[38:39], -v[46:47]
	v_fma_f64 v[16:17], v[42:43], s[4:5], v[60:61]
	v_lshrrev_b32_e32 v3, 4, v85
	v_mul_u32_u24_e32 v3, 48, v3
	v_fma_f64 v[22:23], v[22:23], -0.5, v[26:27]
	v_add_f64 v[26:27], v[36:37], -v[44:45]
	v_or_b32_e32 v3, v3, v0
	v_lshl_add_u32 v3, v3, 4, 0
	v_add_f64 v[24:25], v[24:25], v[36:37]
	ds_write_b128 v3, v[8:11]
	ds_write_b128 v3, v[12:15] offset:256
	ds_write_b128 v3, v[16:19] offset:512
	v_fma_f64 v[12:13], v[38:39], s[2:3], v[20:21]
	v_fma_f64 v[16:17], v[38:39], s[4:5], v[20:21]
	v_add_f64 v[20:21], v[68:69], v[52:53]
	v_fma_f64 v[14:15], v[26:27], s[4:5], v[22:23]
	v_fma_f64 v[18:19], v[26:27], s[2:3], v[22:23]
	v_lshrrev_b32_e32 v3, 4, v6
	v_add_f64 v[22:23], v[70:71], v[54:55]
	v_mul_u32_u24_e32 v3, 48, v3
	v_or_b32_e32 v2, v3, v2
	v_add_f64 v[10:11], v[40:41], v[46:47]
	v_add_f64 v[8:9], v[24:25], v[44:45]
	v_lshl_add_u32 v36, v2, 4, 0
	v_fma_f64 v[2:3], v[20:21], -0.5, v[28:29]
	v_add_f64 v[20:21], v[30:31], v[70:71]
	v_add_f64 v[26:27], v[70:71], -v[54:55]
	v_add_f64 v[24:25], v[28:29], v[68:69]
	v_fma_f64 v[22:23], v[22:23], -0.5, v[30:31]
	v_add_f64 v[28:29], v[68:69], -v[52:53]
	ds_write_b128 v36, v[8:11]
	ds_write_b128 v36, v[12:15] offset:256
	ds_write_b128 v36, v[16:19] offset:512
	v_add_f64 v[10:11], v[20:21], v[54:55]
	v_fma_f64 v[12:13], v[26:27], s[2:3], v[2:3]
	v_add_f64 v[20:21], v[64:65], v[56:57]
	v_fma_f64 v[16:17], v[26:27], s[4:5], v[2:3]
	;; [unrolled: 2-line block ×3, first 2 shown]
	v_fma_f64 v[18:19], v[28:29], s[2:3], v[22:23]
	v_lshrrev_b32_e32 v22, 4, v5
	v_mul_u32_u24_e32 v22, 48, v22
	v_add_f64 v[8:9], v[24:25], v[52:53]
	v_or_b32_e32 v0, v22, v0
	v_add_f64 v[22:23], v[34:35], v[74:75]
	v_add_f64 v[24:25], v[32:33], v[64:65]
	v_fma_f64 v[20:21], v[20:21], -0.5, v[32:33]
	v_add_f64 v[26:27], v[74:75], -v[58:59]
	v_fma_f64 v[2:3], v[2:3], -0.5, v[34:35]
	v_add_f64 v[28:29], v[64:65], -v[56:57]
	v_lshl_add_u32 v0, v0, 4, 0
	ds_write_b128 v0, v[8:11]
	ds_write_b128 v0, v[12:15] offset:256
	v_add_f64 v[10:11], v[22:23], v[58:59]
	v_add_f64 v[8:9], v[24:25], v[56:57]
	ds_write_b128 v0, v[16:19] offset:512
	v_fma_f64 v[12:13], v[26:27], s[2:3], v[20:21]
	v_fma_f64 v[20:21], v[26:27], s[4:5], v[20:21]
	;; [unrolled: 1-line block ×4, first 2 shown]
	v_lshrrev_b32_e32 v0, 4, v4
	v_mul_u32_u24_e32 v0, 48, v0
	v_or_b32_e32 v0, v0, v1
	v_lshl_add_u32 v0, v0, 4, 0
	ds_write_b128 v0, v[8:11]
	ds_write_b128 v0, v[12:15] offset:256
	ds_write_b128 v0, v[20:23] offset:512
	v_subrev_u32_e32 v0, 48, v84
	v_cndmask_b32_e32 v9, v0, v84, vcc
	v_lshlrev_b32_e32 v88, 1, v9
	v_lshlrev_b64 v[0:1], 4, v[88:89]
	v_mov_b32_e32 v2, s9
	v_add_co_u32_e32 v0, vcc, s8, v0
	v_addc_co_u32_e32 v1, vcc, v2, v1, vcc
	s_waitcnt lgkmcnt(0)
	; wave barrier
	s_waitcnt lgkmcnt(0)
	global_load_dwordx4 v[10:13], v[0:1], off offset:736
	global_load_dwordx4 v[20:23], v[0:1], off offset:752
	v_mul_lo_u16_sdwa v0, v7, s6 dst_sel:DWORD dst_unused:UNUSED_PAD src0_sel:BYTE_0 src1_sel:DWORD
	v_lshrrev_b16_e32 v8, 13, v0
	v_mul_lo_u16_e32 v0, 48, v8
	v_sub_u16_e32 v3, v7, v0
	v_mov_b32_e32 v7, 5
	v_lshlrev_b32_sdwa v0, v7, v3 dst_sel:DWORD dst_unused:UNUSED_PAD src0_sel:DWORD src1_sel:BYTE_0
	global_load_dwordx4 v[24:27], v0, s[8:9] offset:736
	global_load_dwordx4 v[28:31], v0, s[8:9] offset:752
	v_mul_lo_u16_sdwa v0, v85, s6 dst_sel:DWORD dst_unused:UNUSED_PAD src0_sel:BYTE_0 src1_sel:DWORD
	v_lshrrev_b16_e32 v1, 13, v0
	v_mul_lo_u16_e32 v0, 48, v1
	v_sub_u16_e32 v2, v85, v0
	v_lshlrev_b32_sdwa v0, v7, v2 dst_sel:DWORD dst_unused:UNUSED_PAD src0_sel:DWORD src1_sel:BYTE_0
	global_load_dwordx4 v[32:35], v0, s[8:9] offset:736
	global_load_dwordx4 v[36:39], v0, s[8:9] offset:752
	v_mul_lo_u16_sdwa v0, v6, s6 dst_sel:DWORD dst_unused:UNUSED_PAD src0_sel:BYTE_0 src1_sel:DWORD
	v_lshrrev_b16_e32 v0, 13, v0
	v_mul_lo_u16_e32 v14, 48, v0
	v_sub_u16_e32 v6, v6, v14
	v_lshlrev_b32_sdwa v7, v7, v6 dst_sel:DWORD dst_unused:UNUSED_PAD src0_sel:DWORD src1_sel:BYTE_0
	global_load_dwordx4 v[40:43], v7, s[8:9] offset:736
	global_load_dwordx4 v[44:47], v7, s[8:9] offset:752
	s_mov_b32 s6, 0xaaab
	v_mul_u32_u24_sdwa v7, v5, s6 dst_sel:DWORD dst_unused:UNUSED_PAD src0_sel:WORD_0 src1_sel:DWORD
	v_lshrrev_b32_e32 v16, 21, v7
	v_mul_lo_u16_e32 v7, 48, v16
	v_sub_u16_e32 v17, v5, v7
	v_lshlrev_b32_e32 v5, 5, v17
	global_load_dwordx4 v[48:51], v5, s[8:9] offset:736
	global_load_dwordx4 v[52:55], v5, s[8:9] offset:752
	v_mul_u32_u24_sdwa v5, v4, s6 dst_sel:DWORD dst_unused:UNUSED_PAD src0_sel:WORD_0 src1_sel:DWORD
	v_lshrrev_b32_e32 v18, 21, v5
	v_mul_lo_u16_e32 v5, 48, v18
	v_sub_u16_e32 v19, v4, v5
	v_lshlrev_b32_e32 v4, 5, v19
	global_load_dwordx4 v[56:59], v4, s[8:9] offset:736
	global_load_dwordx4 v[60:63], v4, s[8:9] offset:752
	ds_read_b128 v[64:67], v90 offset:5376
	ds_read_b128 v[68:71], v90 offset:10752
	ds_read_b128 v[72:75], v90 offset:6272
	v_cmp_lt_u32_e32 vcc, 47, v84
	v_lshlrev_b32_e32 v9, 4, v9
	v_mul_u32_u24_e32 v1, 0x900, v1
	v_mul_u32_u24_e32 v0, 0x900, v0
	;; [unrolled: 1-line block ×3, first 2 shown]
	v_lshlrev_b32_e32 v17, 4, v17
	v_add3_u32 v16, 0, v16, v17
	v_lshlrev_b32_e32 v17, 4, v19
	s_waitcnt vmcnt(11) lgkmcnt(2)
	v_mul_f64 v[4:5], v[66:67], v[12:13]
	v_mul_f64 v[76:77], v[64:65], v[12:13]
	s_waitcnt vmcnt(10) lgkmcnt(1)
	v_mul_f64 v[78:79], v[70:71], v[22:23]
	v_mul_f64 v[22:23], v[68:69], v[22:23]
	ds_read_b128 v[12:15], v90 offset:11648
	s_waitcnt vmcnt(9) lgkmcnt(1)
	v_mul_f64 v[80:81], v[74:75], v[26:27]
	v_fma_f64 v[4:5], v[64:65], v[10:11], v[4:5]
	v_fma_f64 v[82:83], v[66:67], v[10:11], -v[76:77]
	v_mul_f64 v[10:11], v[72:73], v[26:27]
	v_fma_f64 v[91:92], v[68:69], v[20:21], v[78:79]
	v_fma_f64 v[93:94], v[70:71], v[20:21], -v[22:23]
	ds_read_b128 v[20:23], v90 offset:7168
	ds_read_b128 v[64:67], v90 offset:12544
	ds_read_b128 v[68:71], v90 offset:8064
	v_fma_f64 v[72:73], v[72:73], v[24:25], v[80:81]
	s_waitcnt vmcnt(8) lgkmcnt(3)
	v_mul_f64 v[26:27], v[14:15], v[30:31]
	v_mul_f64 v[30:31], v[12:13], v[30:31]
	s_waitcnt vmcnt(7) lgkmcnt(2)
	v_mul_f64 v[80:81], v[22:23], v[34:35]
	v_mul_f64 v[34:35], v[20:21], v[34:35]
	v_fma_f64 v[74:75], v[74:75], v[24:25], -v[10:11]
	s_waitcnt vmcnt(5) lgkmcnt(0)
	v_mul_f64 v[10:11], v[70:71], v[42:43]
	v_mul_f64 v[95:96], v[66:67], v[38:39]
	;; [unrolled: 1-line block ×3, first 2 shown]
	ds_read_b128 v[76:79], v90 offset:13440
	v_fma_f64 v[97:98], v[12:13], v[28:29], v[26:27]
	v_fma_f64 v[80:81], v[20:21], v[32:33], v[80:81]
	v_fma_f64 v[99:100], v[22:23], v[32:33], -v[34:35]
	v_mul_f64 v[32:33], v[68:69], v[42:43]
	v_fma_f64 v[68:69], v[68:69], v[40:41], v[10:11]
	ds_read_b128 v[10:13], v90 offset:8960
	ds_read_b128 v[20:23], v90 offset:14336
	;; [unrolled: 1-line block ×3, first 2 shown]
	v_fma_f64 v[64:65], v[64:65], v[36:37], v[95:96]
	v_fma_f64 v[66:67], v[66:67], v[36:37], -v[38:39]
	s_waitcnt vmcnt(4) lgkmcnt(3)
	v_mul_f64 v[34:35], v[78:79], v[46:47]
	v_mul_f64 v[36:37], v[76:77], v[46:47]
	s_waitcnt vmcnt(3) lgkmcnt(2)
	v_mul_f64 v[38:39], v[12:13], v[50:51]
	v_mul_f64 v[42:43], v[10:11], v[50:51]
	;; [unrolled: 3-line block ×3, first 2 shown]
	v_fma_f64 v[54:55], v[70:71], v[40:41], -v[32:33]
	s_waitcnt vmcnt(1) lgkmcnt(0)
	v_mul_f64 v[32:33], v[26:27], v[58:59]
	v_fma_f64 v[70:71], v[76:77], v[44:45], v[34:35]
	v_fma_f64 v[76:77], v[78:79], v[44:45], -v[36:37]
	v_add_f64 v[34:35], v[4:5], v[91:92]
	v_mul_f64 v[36:37], v[24:25], v[58:59]
	v_fma_f64 v[95:96], v[20:21], v[52:53], v[46:47]
	v_fma_f64 v[50:51], v[22:23], v[52:53], -v[50:51]
	v_fma_f64 v[14:15], v[14:15], v[28:29], -v[30:31]
	v_fma_f64 v[52:53], v[24:25], v[56:57], v[32:33]
	v_add_f64 v[24:25], v[82:83], v[93:94]
	ds_read_b128 v[28:31], v90 offset:15232
	v_fma_f64 v[78:79], v[10:11], v[48:49], v[38:39]
	v_fma_f64 v[48:49], v[12:13], v[48:49], -v[42:43]
	ds_read_b128 v[10:13], v90
	ds_read_b128 v[20:23], v90 offset:896
	s_waitcnt vmcnt(0) lgkmcnt(2)
	v_mul_f64 v[32:33], v[30:31], v[62:63]
	v_mul_f64 v[38:39], v[28:29], v[62:63]
	v_fma_f64 v[56:57], v[26:27], v[56:57], -v[36:37]
	s_waitcnt lgkmcnt(1)
	v_fma_f64 v[34:35], v[34:35], -0.5, v[10:11]
	v_add_f64 v[10:11], v[10:11], v[4:5]
	v_fma_f64 v[44:45], v[24:25], -0.5, v[12:13]
	v_add_f64 v[4:5], v[4:5], -v[91:92]
	v_add_f64 v[40:41], v[12:13], v[82:83]
	v_fma_f64 v[58:59], v[28:29], v[60:61], v[32:33]
	v_fma_f64 v[60:61], v[30:31], v[60:61], -v[38:39]
	v_add_f64 v[62:63], v[74:75], v[14:15]
	v_add_f64 v[42:43], v[82:83], -v[93:94]
	v_add_f64 v[10:11], v[10:11], v[91:92]
	v_fma_f64 v[26:27], v[4:5], s[4:5], v[44:45]
	v_fma_f64 v[30:31], v[4:5], s[2:3], v[44:45]
	v_mov_b32_e32 v4, 0x900
	v_cndmask_b32_e32 v7, 0, v4, vcc
	v_add_f64 v[4:5], v[72:73], v[97:98]
	v_add_f64 v[12:13], v[40:41], v[93:94]
	s_waitcnt lgkmcnt(0)
	v_fma_f64 v[62:63], v[62:63], -0.5, v[22:23]
	v_add_f64 v[22:23], v[22:23], v[74:75]
	v_add_f64 v[74:75], v[74:75], -v[14:15]
	v_fma_f64 v[24:25], v[42:43], s[2:3], v[34:35]
	v_fma_f64 v[28:29], v[42:43], s[4:5], v[34:35]
	v_add3_u32 v7, 0, v7, v9
	v_fma_f64 v[4:5], v[4:5], -0.5, v[20:21]
	v_add_f64 v[20:21], v[20:21], v[72:73]
	ds_read_b128 v[32:35], v90 offset:1792
	ds_read_b128 v[36:39], v90 offset:2688
	ds_read_b128 v[40:43], v90 offset:3584
	ds_read_b128 v[44:47], v90 offset:4480
	s_waitcnt lgkmcnt(0)
	; wave barrier
	v_add_f64 v[72:73], v[72:73], -v[97:98]
	s_waitcnt lgkmcnt(0)
	ds_write_b128 v7, v[10:13]
	ds_write_b128 v7, v[24:27] offset:768
	ds_write_b128 v7, v[28:31] offset:1536
	v_add_f64 v[11:12], v[22:23], v[14:15]
	v_add_f64 v[13:14], v[80:81], v[64:65]
	v_add_f64 v[9:10], v[20:21], v[97:98]
	v_fma_f64 v[20:21], v[74:75], s[2:3], v[4:5]
	v_fma_f64 v[24:25], v[74:75], s[4:5], v[4:5]
	v_add_f64 v[4:5], v[99:100], v[66:67]
	v_mov_b32_e32 v15, 4
	v_mul_u32_u24_e32 v7, 0x900, v8
	v_lshlrev_b32_sdwa v3, v15, v3 dst_sel:DWORD dst_unused:UNUSED_PAD src0_sel:DWORD src1_sel:BYTE_0
	v_fma_f64 v[22:23], v[72:73], s[4:5], v[62:63]
	v_fma_f64 v[26:27], v[72:73], s[2:3], v[62:63]
	v_add3_u32 v62, 0, v7, v3
	v_fma_f64 v[13:14], v[13:14], -0.5, v[32:33]
	v_add_f64 v[28:29], v[32:33], v[80:81]
	v_add_f64 v[30:31], v[99:100], -v[66:67]
	v_fma_f64 v[3:4], v[4:5], -0.5, v[34:35]
	v_add_f64 v[32:33], v[80:81], -v[64:65]
	v_add_f64 v[7:8], v[34:35], v[99:100]
	ds_write_b128 v62, v[9:12]
	ds_write_b128 v62, v[20:23] offset:768
	ds_write_b128 v62, v[24:27] offset:1536
	v_add_f64 v[24:25], v[68:69], v[70:71]
	v_lshlrev_b32_sdwa v2, v15, v2 dst_sel:DWORD dst_unused:UNUSED_PAD src0_sel:DWORD src1_sel:BYTE_0
	v_fma_f64 v[11:12], v[30:31], s[2:3], v[13:14]
	v_fma_f64 v[20:21], v[30:31], s[4:5], v[13:14]
	;; [unrolled: 1-line block ×4, first 2 shown]
	v_add_f64 v[3:4], v[54:55], v[76:77]
	v_add3_u32 v5, 0, v1, v2
	v_add_f64 v[1:2], v[38:39], v[54:55]
	v_add_f64 v[26:27], v[36:37], v[68:69]
	;; [unrolled: 1-line block ×4, first 2 shown]
	v_fma_f64 v[24:25], v[24:25], -0.5, v[36:37]
	v_add_f64 v[28:29], v[54:55], -v[76:77]
	v_fma_f64 v[30:31], v[3:4], -0.5, v[38:39]
	v_add_f64 v[32:33], v[68:69], -v[70:71]
	v_add_f64 v[3:4], v[1:2], v[76:77]
	v_add_f64 v[1:2], v[26:27], v[70:71]
	v_lshlrev_b32_sdwa v15, v15, v6 dst_sel:DWORD dst_unused:UNUSED_PAD src0_sel:DWORD src1_sel:BYTE_0
	ds_write_b128 v5, v[7:10]
	ds_write_b128 v5, v[11:14] offset:768
	ds_write_b128 v5, v[20:23] offset:1536
	v_add3_u32 v15, 0, v0, v15
	v_fma_f64 v[7:8], v[28:29], s[2:3], v[24:25]
	v_fma_f64 v[11:12], v[28:29], s[4:5], v[24:25]
	;; [unrolled: 1-line block ×4, first 2 shown]
	ds_write_b128 v15, v[1:4]
	v_add_f64 v[0:1], v[48:49], v[50:51]
	v_add_f64 v[5:6], v[78:79], v[95:96]
	;; [unrolled: 1-line block ×5, first 2 shown]
	ds_write_b128 v15, v[7:10] offset:768
	v_add_f64 v[7:8], v[40:41], v[78:79]
	ds_write_b128 v15, v[11:14] offset:1536
	v_fma_f64 v[11:12], v[0:1], -0.5, v[42:43]
	v_add_f64 v[0:1], v[56:57], v[60:61]
	v_fma_f64 v[4:5], v[5:6], -0.5, v[40:41]
	v_add_f64 v[9:10], v[48:49], -v[50:51]
	v_add_f64 v[22:23], v[2:3], v[50:51]
	v_add_f64 v[2:3], v[78:79], -v[95:96]
	v_add_f64 v[20:21], v[7:8], v[95:96]
	v_add_f64 v[6:7], v[46:47], v[56:57]
	v_fma_f64 v[13:14], v[26:27], -0.5, v[44:45]
	v_add_f64 v[30:31], v[56:57], -v[60:61]
	v_fma_f64 v[32:33], v[0:1], -0.5, v[46:47]
	v_add_f64 v[34:35], v[52:53], -v[58:59]
	v_fma_f64 v[24:25], v[9:10], s[2:3], v[4:5]
	v_fma_f64 v[26:27], v[2:3], s[4:5], v[11:12]
	;; [unrolled: 1-line block ×4, first 2 shown]
	v_add_f64 v[6:7], v[6:7], v[60:61]
	v_add_f64 v[4:5], v[28:29], v[58:59]
	v_fma_f64 v[8:9], v[30:31], s[2:3], v[13:14]
	v_fma_f64 v[10:11], v[34:35], s[4:5], v[32:33]
	v_fma_f64 v[12:13], v[30:31], s[4:5], v[13:14]
	v_fma_f64 v[14:15], v[34:35], s[2:3], v[32:33]
	ds_write_b128 v16, v[20:23]
	ds_write_b128 v16, v[24:27] offset:768
	ds_write_b128 v16, v[0:3] offset:1536
	v_mul_u32_u24_e32 v16, 0x900, v18
	v_add3_u32 v16, 0, v16, v17
	ds_write_b128 v16, v[4:7]
	ds_write_b128 v16, v[8:11] offset:768
	ds_write_b128 v16, v[12:15] offset:1536
	s_waitcnt lgkmcnt(0)
	; wave barrier
	s_waitcnt lgkmcnt(0)
	ds_read_b128 v[32:35], v90
	ds_read_b128 v[28:31], v90 offset:896
	ds_read_b128 v[80:83], v90 offset:2304
	ds_read_b128 v[56:59], v90 offset:3200
	ds_read_b128 v[76:79], v90 offset:4608
	ds_read_b128 v[52:55], v90 offset:5504
	ds_read_b128 v[72:75], v90 offset:6912
	ds_read_b128 v[48:51], v90 offset:7808
	ds_read_b128 v[68:71], v90 offset:9216
	ds_read_b128 v[44:47], v90 offset:10112
	ds_read_b128 v[64:67], v90 offset:11520
	ds_read_b128 v[40:43], v90 offset:12416
	ds_read_b128 v[60:63], v90 offset:13824
	ds_read_b128 v[36:39], v90 offset:14720
	v_cmp_gt_u32_e32 vcc, 32, v84
                                        ; implicit-def: $vgpr26_vgpr27
                                        ; implicit-def: $vgpr22_vgpr23
                                        ; implicit-def: $vgpr18_vgpr19
	s_and_saveexec_b64 s[2:3], vcc
	s_cbranch_execz .LBB0_19
; %bb.18:
	ds_read_b128 v[0:3], v90 offset:1792
	ds_read_b128 v[4:7], v90 offset:4096
	;; [unrolled: 1-line block ×7, first 2 shown]
.LBB0_19:
	s_or_b64 exec, exec, s[2:3]
	v_mul_u32_u24_e32 v88, 6, v84
	v_lshlrev_b32_e32 v88, 4, v88
	v_add_co_u32_e64 v109, s[2:3], s8, v88
	v_mov_b32_e32 v91, s9
	v_addc_co_u32_e64 v110, s[2:3], 0, v91, s[2:3]
	global_load_dwordx4 v[91:94], v88, s[8:9] offset:2320
	global_load_dwordx4 v[95:98], v88, s[8:9] offset:2304
	;; [unrolled: 1-line block ×4, first 2 shown]
	s_movk_i32 s2, 0x1500
	v_add_co_u32_e64 v109, s[2:3], s2, v109
	v_addc_co_u32_e64 v110, s[2:3], 0, v110, s[2:3]
	s_mov_b32 s2, 0x37e14327
	s_mov_b32 s4, 0x36b3c0b5
	;; [unrolled: 1-line block ×20, first 2 shown]
	s_waitcnt vmcnt(0) lgkmcnt(11)
	v_mul_f64 v[107:108], v[82:83], v[105:106]
	v_fma_f64 v[107:108], v[80:81], v[103:104], v[107:108]
	v_mul_f64 v[80:81], v[80:81], v[105:106]
	v_fma_f64 v[80:81], v[82:83], v[103:104], -v[80:81]
	s_waitcnt lgkmcnt(9)
	v_mul_f64 v[82:83], v[78:79], v[101:102]
	v_fma_f64 v[82:83], v[76:77], v[99:100], v[82:83]
	v_mul_f64 v[76:77], v[76:77], v[101:102]
	v_fma_f64 v[78:79], v[78:79], v[99:100], -v[76:77]
	s_waitcnt lgkmcnt(7)
	;; [unrolled: 5-line block ×3, first 2 shown]
	v_mul_f64 v[72:73], v[70:71], v[93:94]
	v_fma_f64 v[97:98], v[68:69], v[91:92], v[72:73]
	v_mul_f64 v[68:69], v[68:69], v[93:94]
	v_fma_f64 v[91:92], v[70:71], v[91:92], -v[68:69]
	global_load_dwordx4 v[68:71], v88, s[8:9] offset:2352
	global_load_dwordx4 v[72:75], v88, s[8:9] offset:2336
	s_waitcnt vmcnt(0) lgkmcnt(3)
	v_mul_f64 v[76:77], v[66:67], v[74:75]
	v_fma_f64 v[93:94], v[64:65], v[72:73], v[76:77]
	v_mul_f64 v[64:65], v[64:65], v[74:75]
	v_fma_f64 v[101:102], v[66:67], v[72:73], -v[64:65]
	s_waitcnt lgkmcnt(1)
	v_mul_f64 v[64:65], v[62:63], v[70:71]
	v_fma_f64 v[103:104], v[60:61], v[68:69], v[64:65]
	v_mul_f64 v[60:61], v[60:61], v[70:71]
	v_fma_f64 v[105:106], v[62:63], v[68:69], -v[60:61]
	global_load_dwordx4 v[62:65], v[109:110], off offset:2320
	global_load_dwordx4 v[66:69], v[109:110], off offset:2304
	;; [unrolled: 1-line block ×4, first 2 shown]
	s_waitcnt vmcnt(0)
	v_mul_f64 v[60:61], v[58:59], v[76:77]
	v_fma_f64 v[60:61], v[56:57], v[74:75], v[60:61]
	v_mul_f64 v[56:57], v[56:57], v[76:77]
	v_add_f64 v[76:77], v[91:92], -v[95:96]
	v_fma_f64 v[58:59], v[58:59], v[74:75], -v[56:57]
	v_mul_f64 v[56:57], v[54:55], v[72:73]
	v_add_f64 v[74:75], v[97:98], -v[99:100]
	v_fma_f64 v[56:57], v[52:53], v[70:71], v[56:57]
	v_mul_f64 v[52:53], v[52:53], v[72:73]
	v_add_f64 v[72:73], v[95:96], v[91:92]
	v_fma_f64 v[54:55], v[54:55], v[70:71], -v[52:53]
	v_mul_f64 v[52:53], v[50:51], v[68:69]
	v_add_f64 v[70:71], v[99:100], v[97:98]
	v_fma_f64 v[52:53], v[48:49], v[66:67], v[52:53]
	v_mul_f64 v[48:49], v[48:49], v[68:69]
	v_fma_f64 v[48:49], v[50:51], v[66:67], -v[48:49]
	v_mul_f64 v[50:51], v[46:47], v[64:65]
	v_fma_f64 v[50:51], v[44:45], v[62:63], v[50:51]
	v_mul_f64 v[44:45], v[44:45], v[64:65]
	v_fma_f64 v[44:45], v[46:47], v[62:63], -v[44:45]
	global_load_dwordx4 v[62:65], v[109:110], off offset:2352
	global_load_dwordx4 v[66:69], v[109:110], off offset:2336
	s_waitcnt lgkmcnt(0)
	; wave barrier
	s_waitcnt vmcnt(0) lgkmcnt(0)
	v_mul_f64 v[46:47], v[42:43], v[68:69]
	v_fma_f64 v[46:47], v[40:41], v[66:67], v[46:47]
	v_mul_f64 v[40:41], v[40:41], v[68:69]
	v_add_f64 v[68:69], v[78:79], -v[101:102]
	v_fma_f64 v[109:110], v[42:43], v[66:67], -v[40:41]
	v_mul_f64 v[40:41], v[38:39], v[64:65]
	v_add_f64 v[42:43], v[80:81], -v[105:106]
	v_add_f64 v[66:67], v[82:83], -v[93:94]
	v_add_f64 v[95:96], v[76:77], v[68:69]
	v_add_f64 v[99:100], v[76:77], -v[68:69]
	v_fma_f64 v[111:112], v[36:37], v[62:63], v[40:41]
	v_mul_f64 v[36:37], v[36:37], v[64:65]
	v_add_f64 v[64:65], v[78:79], v[101:102]
	v_add_f64 v[40:41], v[107:108], -v[103:104]
	v_add_f64 v[97:98], v[74:75], -v[66:67]
	;; [unrolled: 1-line block ×4, first 2 shown]
	v_add_f64 v[42:43], v[95:96], v[42:43]
	v_mul_f64 v[95:96], v[99:100], s[14:15]
	v_fma_f64 v[113:114], v[38:39], v[62:63], -v[36:37]
	v_add_f64 v[36:37], v[107:108], v[103:104]
	v_add_f64 v[38:39], v[80:81], v[105:106]
	;; [unrolled: 1-line block ×4, first 2 shown]
	v_add_f64 v[66:67], v[66:67], -v[40:41]
	v_add_f64 v[74:75], v[40:41], -v[74:75]
	v_mul_f64 v[99:100], v[68:69], s[6:7]
	v_fma_f64 v[68:69], v[68:69], s[6:7], -v[95:96]
	v_add_f64 v[80:81], v[64:65], v[38:39]
	v_add_f64 v[78:79], v[62:63], v[36:37]
	v_add_f64 v[82:83], v[62:63], -v[36:37]
	v_add_f64 v[91:92], v[64:65], -v[38:39]
	;; [unrolled: 1-line block ×6, first 2 shown]
	v_add_f64 v[72:73], v[72:73], v[80:81]
	v_add_f64 v[70:71], v[70:71], v[78:79]
	;; [unrolled: 1-line block ×3, first 2 shown]
	v_mul_f64 v[93:94], v[97:98], s[14:15]
	v_mul_f64 v[36:37], v[36:37], s[2:3]
	;; [unrolled: 1-line block ×5, first 2 shown]
	v_add_f64 v[34:35], v[34:35], v[72:73]
	v_add_f64 v[32:33], v[32:33], v[70:71]
	v_mul_f64 v[97:98], v[66:67], s[6:7]
	v_fma_f64 v[66:67], v[66:67], s[6:7], -v[93:94]
	v_fma_f64 v[62:63], v[62:63], s[4:5], v[36:37]
	v_fma_f64 v[64:65], v[64:65], s[4:5], v[38:39]
	v_fma_f64 v[78:79], v[82:83], s[16:17], -v[78:79]
	v_fma_f64 v[80:81], v[91:92], s[16:17], -v[80:81]
	v_fma_f64 v[72:73], v[72:73], s[10:11], v[34:35]
	v_fma_f64 v[70:71], v[70:71], s[10:11], v[32:33]
	v_fma_f64 v[36:37], v[82:83], s[18:19], -v[36:37]
	;; [unrolled: 4-line block ×3, first 2 shown]
	v_fma_f64 v[76:77], v[76:77], s[24:25], -v[99:100]
	v_add_f64 v[95:96], v[64:65], v[72:73]
	v_add_f64 v[93:94], v[62:63], v[70:71]
	;; [unrolled: 1-line block ×6, first 2 shown]
	v_fma_f64 v[82:83], v[40:41], s[20:21], v[82:83]
	v_fma_f64 v[91:92], v[42:43], s[20:21], v[91:92]
	;; [unrolled: 1-line block ×6, first 2 shown]
	v_add_f64 v[38:39], v[95:96], -v[82:83]
	v_add_f64 v[36:37], v[91:92], v[93:94]
	v_add_f64 v[64:65], v[97:98], v[80:81]
	v_add_f64 v[62:63], v[78:79], -v[66:67]
	v_add_f64 v[42:43], v[72:73], -v[74:75]
	v_add_f64 v[40:41], v[76:77], v[70:71]
	v_add_f64 v[66:67], v[66:67], v[78:79]
	v_add_f64 v[68:69], v[80:81], -v[97:98]
	v_add_f64 v[70:71], v[70:71], -v[76:77]
	v_add_f64 v[72:73], v[74:75], v[72:73]
	v_add_f64 v[74:75], v[93:94], -v[91:92]
	v_add_f64 v[76:77], v[82:83], v[95:96]
	v_add_f64 v[78:79], v[60:61], v[111:112]
	;; [unrolled: 1-line block ×5, first 2 shown]
	v_add_f64 v[60:61], v[60:61], -v[111:112]
	v_add_f64 v[58:59], v[58:59], -v[113:114]
	;; [unrolled: 1-line block ×4, first 2 shown]
	v_add_f64 v[56:57], v[52:53], v[50:51]
	v_add_f64 v[93:94], v[48:49], v[44:45]
	v_add_f64 v[50:51], v[50:51], -v[52:53]
	v_add_f64 v[44:45], v[44:45], -v[48:49]
	v_add_f64 v[48:49], v[82:83], v[78:79]
	v_add_f64 v[52:53], v[91:92], v[80:81]
	v_add_f64 v[95:96], v[82:83], -v[78:79]
	v_add_f64 v[97:98], v[91:92], -v[80:81]
	;; [unrolled: 1-line block ×6, first 2 shown]
	v_add_f64 v[99:100], v[50:51], v[46:47]
	v_add_f64 v[101:102], v[44:45], v[54:55]
	v_add_f64 v[103:104], v[50:51], -v[46:47]
	v_add_f64 v[105:106], v[44:45], -v[54:55]
	;; [unrolled: 1-line block ×4, first 2 shown]
	v_add_f64 v[48:49], v[56:57], v[48:49]
	v_add_f64 v[52:53], v[93:94], v[52:53]
	v_add_f64 v[50:51], v[60:61], -v[50:51]
	v_add_f64 v[44:45], v[58:59], -v[44:45]
	v_add_f64 v[56:57], v[99:100], v[60:61]
	v_add_f64 v[58:59], v[101:102], v[58:59]
	v_mul_f64 v[60:61], v[78:79], s[2:3]
	v_mul_f64 v[78:79], v[80:81], s[2:3]
	v_add_f64 v[28:29], v[28:29], v[48:49]
	v_add_f64 v[30:31], v[30:31], v[52:53]
	v_mul_f64 v[80:81], v[82:83], s[4:5]
	v_mul_f64 v[93:94], v[91:92], s[4:5]
	;; [unrolled: 1-line block ×6, first 2 shown]
	v_fma_f64 v[48:49], v[48:49], s[10:11], v[28:29]
	v_fma_f64 v[52:53], v[52:53], s[10:11], v[30:31]
	;; [unrolled: 1-line block ×4, first 2 shown]
	v_fma_f64 v[80:81], v[95:96], s[16:17], -v[80:81]
	v_fma_f64 v[93:94], v[97:98], s[16:17], -v[93:94]
	;; [unrolled: 1-line block ×4, first 2 shown]
	v_fma_f64 v[95:96], v[50:51], s[22:23], v[99:100]
	v_fma_f64 v[97:98], v[44:45], s[22:23], v[101:102]
	v_fma_f64 v[46:47], v[46:47], s[6:7], -v[99:100]
	v_fma_f64 v[54:55], v[54:55], s[6:7], -v[101:102]
	;; [unrolled: 1-line block ×4, first 2 shown]
	v_add_f64 v[82:83], v[82:83], v[48:49]
	v_add_f64 v[99:100], v[91:92], v[52:53]
	;; [unrolled: 1-line block ×6, first 2 shown]
	v_fma_f64 v[95:96], v[56:57], s[20:21], v[95:96]
	v_fma_f64 v[97:98], v[58:59], s[20:21], v[97:98]
	;; [unrolled: 1-line block ×6, first 2 shown]
	v_add_f64 v[46:47], v[99:100], -v[95:96]
	v_add_f64 v[44:45], v[97:98], v[82:83]
	v_add_f64 v[54:55], v[78:79], v[91:92]
	v_add_f64 v[52:53], v[80:81], -v[101:102]
	v_add_f64 v[50:51], v[93:94], -v[103:104]
	v_add_f64 v[48:49], v[105:106], v[60:61]
	v_add_f64 v[56:57], v[101:102], v[80:81]
	v_add_f64 v[58:59], v[91:92], -v[78:79]
	v_add_f64 v[78:79], v[60:61], -v[105:106]
	v_add_f64 v[80:81], v[103:104], v[93:94]
	v_add_f64 v[91:92], v[82:83], -v[97:98]
	v_add_f64 v[93:94], v[95:96], v[99:100]
	ds_write_b128 v90, v[32:35]
	ds_write_b128 v90, v[36:39] offset:2304
	ds_write_b128 v90, v[40:43] offset:4608
	;; [unrolled: 1-line block ×13, first 2 shown]
	s_and_saveexec_b64 s[26:27], vcc
	s_cbranch_execz .LBB0_21
; %bb.20:
	v_subrev_u32_e32 v28, 32, v84
	v_cndmask_b32_e32 v28, v28, v85, vcc
	v_mul_i32_i24_e32 v88, 6, v28
	v_lshlrev_b64 v[28:29], 4, v[88:89]
	v_mov_b32_e32 v30, s9
	v_add_co_u32_e32 v52, vcc, s8, v28
	v_addc_co_u32_e32 v53, vcc, v30, v29, vcc
	global_load_dwordx4 v[28:31], v[52:53], off offset:2320
	global_load_dwordx4 v[32:35], v[52:53], off offset:2304
	global_load_dwordx4 v[36:39], v[52:53], off offset:2288
	global_load_dwordx4 v[40:43], v[52:53], off offset:2336
	global_load_dwordx4 v[44:47], v[52:53], off offset:2272
	global_load_dwordx4 v[48:51], v[52:53], off offset:2352
	s_waitcnt vmcnt(5)
	v_mul_f64 v[52:53], v[18:19], v[30:31]
	s_waitcnt vmcnt(4)
	v_mul_f64 v[54:55], v[14:15], v[34:35]
	;; [unrolled: 2-line block ×6, first 2 shown]
	v_mul_f64 v[38:39], v[8:9], v[38:39]
	v_mul_f64 v[42:43], v[20:21], v[42:43]
	;; [unrolled: 1-line block ×6, first 2 shown]
	v_fma_f64 v[8:9], v[8:9], v[36:37], v[56:57]
	v_fma_f64 v[20:21], v[20:21], v[40:41], v[58:59]
	;; [unrolled: 1-line block ×4, first 2 shown]
	v_fma_f64 v[10:11], v[10:11], v[36:37], -v[38:39]
	v_fma_f64 v[22:23], v[22:23], v[40:41], -v[42:43]
	;; [unrolled: 1-line block ×4, first 2 shown]
	v_fma_f64 v[16:17], v[16:17], v[28:29], v[52:53]
	v_fma_f64 v[12:13], v[12:13], v[32:33], v[54:55]
	v_fma_f64 v[14:15], v[14:15], v[32:33], -v[34:35]
	v_fma_f64 v[18:19], v[18:19], v[28:29], -v[30:31]
	v_add_f64 v[30:31], v[8:9], -v[20:21]
	v_add_f64 v[32:33], v[4:5], -v[24:25]
	v_add_f64 v[36:37], v[10:11], v[22:23]
	v_add_f64 v[38:39], v[6:7], v[26:27]
	;; [unrolled: 1-line block ×4, first 2 shown]
	v_add_f64 v[28:29], v[16:17], -v[12:13]
	v_add_f64 v[34:35], v[14:15], v[18:19]
	v_add_f64 v[12:13], v[12:13], v[16:17]
	v_add_f64 v[14:15], v[18:19], -v[14:15]
	v_add_f64 v[10:11], v[10:11], -v[22:23]
	;; [unrolled: 1-line block ×3, first 2 shown]
	v_add_f64 v[26:27], v[36:37], v[38:39]
	v_add_f64 v[42:43], v[8:9], v[4:5]
	;; [unrolled: 1-line block ×3, first 2 shown]
	v_add_f64 v[18:19], v[28:29], -v[30:31]
	v_add_f64 v[20:21], v[32:33], -v[28:29]
	;; [unrolled: 1-line block ×6, first 2 shown]
	v_add_f64 v[26:27], v[34:35], v[26:27]
	v_add_f64 v[12:13], v[12:13], v[42:43]
	v_add_f64 v[30:31], v[30:31], -v[32:33]
	v_add_f64 v[4:5], v[8:9], -v[4:5]
	;; [unrolled: 1-line block ×4, first 2 shown]
	v_add_f64 v[44:45], v[14:15], v[10:11]
	v_add_f64 v[14:15], v[6:7], -v[14:15]
	v_add_f64 v[36:37], v[36:37], -v[38:39]
	v_add_f64 v[10:11], v[16:17], v[32:33]
	v_mul_f64 v[16:17], v[18:19], s[14:15]
	v_mul_f64 v[24:25], v[24:25], s[2:3]
	;; [unrolled: 1-line block ×4, first 2 shown]
	v_add_f64 v[2:3], v[2:3], v[26:27]
	v_add_f64 v[0:1], v[0:1], v[12:13]
	v_mul_f64 v[40:41], v[30:31], s[6:7]
	v_mul_f64 v[42:43], v[8:9], s[6:7]
	;; [unrolled: 1-line block ×4, first 2 shown]
	v_add_f64 v[6:7], v[44:45], v[6:7]
	v_fma_f64 v[44:45], v[20:21], s[22:23], v[16:17]
	v_fma_f64 v[22:23], v[22:23], s[4:5], v[24:25]
	;; [unrolled: 1-line block ×6, first 2 shown]
	v_fma_f64 v[20:21], v[20:21], s[24:25], -v[40:41]
	v_fma_f64 v[24:25], v[36:37], s[18:19], -v[24:25]
	;; [unrolled: 1-line block ×8, first 2 shown]
	v_fma_f64 v[30:31], v[10:11], s[20:21], v[44:45]
	v_fma_f64 v[32:33], v[6:7], s[20:21], v[46:47]
	v_add_f64 v[36:37], v[22:23], v[26:27]
	v_add_f64 v[28:29], v[28:29], v[12:13]
	v_fma_f64 v[20:21], v[10:11], s[20:21], v[20:21]
	v_add_f64 v[22:23], v[24:25], v[26:27]
	v_fma_f64 v[38:39], v[6:7], s[20:21], v[14:15]
	;; [unrolled: 2-line block ×4, first 2 shown]
	v_add_f64 v[4:5], v[4:5], v[12:13]
	v_add_f64 v[26:27], v[36:37], -v[30:31]
	v_add_f64 v[24:25], v[32:33], v[28:29]
	v_add_f64 v[10:11], v[20:21], v[22:23]
	v_add_f64 v[22:23], v[22:23], -v[20:21]
	v_add_f64 v[20:21], v[38:39], v[34:35]
	v_add_f64 v[14:15], v[18:19], -v[16:17]
	;; [unrolled: 2-line block ×5, first 2 shown]
	ds_write_b128 v90, v[0:3] offset:1792
	ds_write_b128 v90, v[24:27] offset:4096
	;; [unrolled: 1-line block ×7, first 2 shown]
.LBB0_21:
	s_or_b64 exec, exec, s[26:27]
	s_waitcnt lgkmcnt(0)
	; wave barrier
	s_waitcnt lgkmcnt(0)
	s_and_saveexec_b64 s[2:3], s[0:1]
	s_cbranch_execz .LBB0_23
; %bb.22:
	v_lshl_add_u32 v10, v84, 4, 0
	v_mov_b32_e32 v85, 0
	ds_read_b128 v[0:3], v10
	v_mov_b32_e32 v4, s13
	v_add_co_u32_e32 v11, vcc, s12, v86
	v_addc_co_u32_e32 v12, vcc, v4, v87, vcc
	v_lshlrev_b64 v[4:5], 4, v[84:85]
	v_add_co_u32_e32 v8, vcc, v11, v4
	v_addc_co_u32_e32 v9, vcc, v12, v5, vcc
	ds_read_b128 v[4:7], v10 offset:896
	s_waitcnt lgkmcnt(1)
	global_store_dwordx4 v[8:9], v[0:3], off
	s_nop 0
	v_add_u32_e32 v0, 56, v84
	v_mov_b32_e32 v1, v85
	v_lshlrev_b64 v[0:1], 4, v[0:1]
	v_add_co_u32_e32 v0, vcc, v11, v0
	v_addc_co_u32_e32 v1, vcc, v12, v1, vcc
	s_waitcnt lgkmcnt(0)
	global_store_dwordx4 v[0:1], v[4:7], off
	ds_read_b128 v[0:3], v10 offset:1792
	v_add_u32_e32 v4, 0x70, v84
	v_mov_b32_e32 v5, v85
	v_lshlrev_b64 v[4:5], 4, v[4:5]
	v_add_co_u32_e32 v8, vcc, v11, v4
	v_addc_co_u32_e32 v9, vcc, v12, v5, vcc
	ds_read_b128 v[4:7], v10 offset:2688
	s_waitcnt lgkmcnt(1)
	global_store_dwordx4 v[8:9], v[0:3], off
	s_nop 0
	v_add_u32_e32 v0, 0xa8, v84
	v_mov_b32_e32 v1, v85
	v_lshlrev_b64 v[0:1], 4, v[0:1]
	v_add_co_u32_e32 v0, vcc, v11, v0
	v_addc_co_u32_e32 v1, vcc, v12, v1, vcc
	s_waitcnt lgkmcnt(0)
	global_store_dwordx4 v[0:1], v[4:7], off
	ds_read_b128 v[0:3], v10 offset:3584
	v_add_u32_e32 v4, 0xe0, v84
	v_mov_b32_e32 v5, v85
	;; [unrolled: 17-line block ×8, first 2 shown]
	v_lshlrev_b64 v[4:5], 4, v[4:5]
	v_add_u32_e32 v84, 0x3b8, v84
	v_add_co_u32_e32 v8, vcc, v11, v4
	v_addc_co_u32_e32 v9, vcc, v12, v5, vcc
	ds_read_b128 v[4:7], v10 offset:15232
	s_waitcnt lgkmcnt(1)
	global_store_dwordx4 v[8:9], v[0:3], off
	s_nop 0
	v_lshlrev_b64 v[0:1], 4, v[84:85]
	v_add_co_u32_e32 v0, vcc, v11, v0
	v_addc_co_u32_e32 v1, vcc, v12, v1, vcc
	s_waitcnt lgkmcnt(0)
	global_store_dwordx4 v[0:1], v[4:7], off
.LBB0_23:
	s_endpgm
	.section	.rodata,"a",@progbits
	.p2align	6, 0x0
	.amdhsa_kernel fft_rtc_back_len1008_factors_2_2_2_2_3_3_7_wgs_56_tpt_56_halfLds_dp_ip_CI_unitstride_sbrr_C2R_dirReg
		.amdhsa_group_segment_fixed_size 0
		.amdhsa_private_segment_fixed_size 0
		.amdhsa_kernarg_size 88
		.amdhsa_user_sgpr_count 6
		.amdhsa_user_sgpr_private_segment_buffer 1
		.amdhsa_user_sgpr_dispatch_ptr 0
		.amdhsa_user_sgpr_queue_ptr 0
		.amdhsa_user_sgpr_kernarg_segment_ptr 1
		.amdhsa_user_sgpr_dispatch_id 0
		.amdhsa_user_sgpr_flat_scratch_init 0
		.amdhsa_user_sgpr_private_segment_size 0
		.amdhsa_uses_dynamic_stack 0
		.amdhsa_system_sgpr_private_segment_wavefront_offset 0
		.amdhsa_system_sgpr_workgroup_id_x 1
		.amdhsa_system_sgpr_workgroup_id_y 0
		.amdhsa_system_sgpr_workgroup_id_z 0
		.amdhsa_system_sgpr_workgroup_info 0
		.amdhsa_system_vgpr_workitem_id 0
		.amdhsa_next_free_vgpr 124
		.amdhsa_next_free_sgpr 28
		.amdhsa_reserve_vcc 1
		.amdhsa_reserve_flat_scratch 0
		.amdhsa_float_round_mode_32 0
		.amdhsa_float_round_mode_16_64 0
		.amdhsa_float_denorm_mode_32 3
		.amdhsa_float_denorm_mode_16_64 3
		.amdhsa_dx10_clamp 1
		.amdhsa_ieee_mode 1
		.amdhsa_fp16_overflow 0
		.amdhsa_exception_fp_ieee_invalid_op 0
		.amdhsa_exception_fp_denorm_src 0
		.amdhsa_exception_fp_ieee_div_zero 0
		.amdhsa_exception_fp_ieee_overflow 0
		.amdhsa_exception_fp_ieee_underflow 0
		.amdhsa_exception_fp_ieee_inexact 0
		.amdhsa_exception_int_div_zero 0
	.end_amdhsa_kernel
	.text
.Lfunc_end0:
	.size	fft_rtc_back_len1008_factors_2_2_2_2_3_3_7_wgs_56_tpt_56_halfLds_dp_ip_CI_unitstride_sbrr_C2R_dirReg, .Lfunc_end0-fft_rtc_back_len1008_factors_2_2_2_2_3_3_7_wgs_56_tpt_56_halfLds_dp_ip_CI_unitstride_sbrr_C2R_dirReg
                                        ; -- End function
	.section	.AMDGPU.csdata,"",@progbits
; Kernel info:
; codeLenInByte = 14888
; NumSgprs: 32
; NumVgprs: 124
; ScratchSize: 0
; MemoryBound: 0
; FloatMode: 240
; IeeeMode: 1
; LDSByteSize: 0 bytes/workgroup (compile time only)
; SGPRBlocks: 3
; VGPRBlocks: 30
; NumSGPRsForWavesPerEU: 32
; NumVGPRsForWavesPerEU: 124
; Occupancy: 2
; WaveLimiterHint : 1
; COMPUTE_PGM_RSRC2:SCRATCH_EN: 0
; COMPUTE_PGM_RSRC2:USER_SGPR: 6
; COMPUTE_PGM_RSRC2:TRAP_HANDLER: 0
; COMPUTE_PGM_RSRC2:TGID_X_EN: 1
; COMPUTE_PGM_RSRC2:TGID_Y_EN: 0
; COMPUTE_PGM_RSRC2:TGID_Z_EN: 0
; COMPUTE_PGM_RSRC2:TIDIG_COMP_CNT: 0
	.type	__hip_cuid_50dfa0f5ac8071c2,@object ; @__hip_cuid_50dfa0f5ac8071c2
	.section	.bss,"aw",@nobits
	.globl	__hip_cuid_50dfa0f5ac8071c2
__hip_cuid_50dfa0f5ac8071c2:
	.byte	0                               ; 0x0
	.size	__hip_cuid_50dfa0f5ac8071c2, 1

	.ident	"AMD clang version 19.0.0git (https://github.com/RadeonOpenCompute/llvm-project roc-6.4.0 25133 c7fe45cf4b819c5991fe208aaa96edf142730f1d)"
	.section	".note.GNU-stack","",@progbits
	.addrsig
	.addrsig_sym __hip_cuid_50dfa0f5ac8071c2
	.amdgpu_metadata
---
amdhsa.kernels:
  - .args:
      - .actual_access:  read_only
        .address_space:  global
        .offset:         0
        .size:           8
        .value_kind:     global_buffer
      - .offset:         8
        .size:           8
        .value_kind:     by_value
      - .actual_access:  read_only
        .address_space:  global
        .offset:         16
        .size:           8
        .value_kind:     global_buffer
      - .actual_access:  read_only
        .address_space:  global
        .offset:         24
        .size:           8
        .value_kind:     global_buffer
      - .offset:         32
        .size:           8
        .value_kind:     by_value
      - .actual_access:  read_only
        .address_space:  global
        .offset:         40
        .size:           8
        .value_kind:     global_buffer
      - .actual_access:  read_only
        .address_space:  global
        .offset:         48
        .size:           8
        .value_kind:     global_buffer
      - .offset:         56
        .size:           4
        .value_kind:     by_value
      - .actual_access:  read_only
        .address_space:  global
        .offset:         64
        .size:           8
        .value_kind:     global_buffer
      - .actual_access:  read_only
        .address_space:  global
        .offset:         72
        .size:           8
        .value_kind:     global_buffer
      - .address_space:  global
        .offset:         80
        .size:           8
        .value_kind:     global_buffer
    .group_segment_fixed_size: 0
    .kernarg_segment_align: 8
    .kernarg_segment_size: 88
    .language:       OpenCL C
    .language_version:
      - 2
      - 0
    .max_flat_workgroup_size: 56
    .name:           fft_rtc_back_len1008_factors_2_2_2_2_3_3_7_wgs_56_tpt_56_halfLds_dp_ip_CI_unitstride_sbrr_C2R_dirReg
    .private_segment_fixed_size: 0
    .sgpr_count:     32
    .sgpr_spill_count: 0
    .symbol:         fft_rtc_back_len1008_factors_2_2_2_2_3_3_7_wgs_56_tpt_56_halfLds_dp_ip_CI_unitstride_sbrr_C2R_dirReg.kd
    .uniform_work_group_size: 1
    .uses_dynamic_stack: false
    .vgpr_count:     124
    .vgpr_spill_count: 0
    .wavefront_size: 64
amdhsa.target:   amdgcn-amd-amdhsa--gfx906
amdhsa.version:
  - 1
  - 2
...

	.end_amdgpu_metadata
